;; amdgpu-corpus repo=ROCm/rocFFT kind=compiled arch=gfx950 opt=O3
	.text
	.amdgcn_target "amdgcn-amd-amdhsa--gfx950"
	.amdhsa_code_object_version 6
	.protected	fft_rtc_fwd_len408_factors_17_3_8_wgs_51_tpt_17_halfLds_sp_op_CI_CI_unitstride_sbrr_R2C_dirReg ; -- Begin function fft_rtc_fwd_len408_factors_17_3_8_wgs_51_tpt_17_halfLds_sp_op_CI_CI_unitstride_sbrr_R2C_dirReg
	.globl	fft_rtc_fwd_len408_factors_17_3_8_wgs_51_tpt_17_halfLds_sp_op_CI_CI_unitstride_sbrr_R2C_dirReg
	.p2align	8
	.type	fft_rtc_fwd_len408_factors_17_3_8_wgs_51_tpt_17_halfLds_sp_op_CI_CI_unitstride_sbrr_R2C_dirReg,@function
fft_rtc_fwd_len408_factors_17_3_8_wgs_51_tpt_17_halfLds_sp_op_CI_CI_unitstride_sbrr_R2C_dirReg: ; @fft_rtc_fwd_len408_factors_17_3_8_wgs_51_tpt_17_halfLds_sp_op_CI_CI_unitstride_sbrr_R2C_dirReg
; %bb.0:
	s_load_dwordx4 s[4:7], s[0:1], 0x58
	s_load_dwordx4 s[8:11], s[0:1], 0x0
	;; [unrolled: 1-line block ×3, first 2 shown]
	v_mul_u32_u24_e32 v1, 0xf10, v0
	v_lshrrev_b32_e32 v2, 16, v1
	v_mad_u64_u32 v[4:5], s[2:3], s2, 3, v[2:3]
	v_mov_b32_e32 v6, 0
	v_mov_b32_e32 v5, v6
	s_waitcnt lgkmcnt(0)
	v_cmp_lt_u64_e64 s[2:3], s[10:11], 2
	v_mov_b64_e32 v[2:3], 0
	s_and_b64 vcc, exec, s[2:3]
	v_mov_b64_e32 v[64:65], v[2:3]
	v_mov_b64_e32 v[68:69], v[4:5]
	s_cbranch_vccnz .LBB0_8
; %bb.1:
	s_load_dwordx2 s[2:3], s[0:1], 0x10
	s_add_u32 s16, s14, 8
	s_addc_u32 s17, s15, 0
	s_add_u32 s18, s12, 8
	s_addc_u32 s19, s13, 0
	s_waitcnt lgkmcnt(0)
	s_add_u32 s20, s2, 8
	v_mov_b64_e32 v[2:3], 0
	s_addc_u32 s21, s3, 0
	s_mov_b64 s[22:23], 1
	v_mov_b64_e32 v[64:65], v[2:3]
	v_mov_b64_e32 v[8:9], v[4:5]
.LBB0_2:                                ; =>This Inner Loop Header: Depth=1
	s_load_dwordx2 s[24:25], s[20:21], 0x0
                                        ; implicit-def: $vgpr68_vgpr69
	s_waitcnt lgkmcnt(0)
	v_or_b32_e32 v7, s25, v9
	v_cmp_ne_u64_e32 vcc, 0, v[6:7]
	s_and_saveexec_b64 s[2:3], vcc
	s_xor_b64 s[26:27], exec, s[2:3]
	s_cbranch_execz .LBB0_4
; %bb.3:                                ;   in Loop: Header=BB0_2 Depth=1
	v_cvt_f32_u32_e32 v1, s24
	v_cvt_f32_u32_e32 v5, s25
	s_sub_u32 s2, 0, s24
	s_subb_u32 s3, 0, s25
	v_fmac_f32_e32 v1, 0x4f800000, v5
	v_rcp_f32_e32 v1, v1
	s_nop 0
	v_mul_f32_e32 v1, 0x5f7ffffc, v1
	v_mul_f32_e32 v5, 0x2f800000, v1
	v_trunc_f32_e32 v5, v5
	v_fmac_f32_e32 v1, 0xcf800000, v5
	v_cvt_u32_f32_e32 v5, v5
	v_cvt_u32_f32_e32 v1, v1
	v_mul_lo_u32 v7, s2, v5
	v_mul_hi_u32 v10, s2, v1
	v_mul_lo_u32 v11, s3, v1
	v_add_u32_e32 v7, v10, v7
	v_mul_lo_u32 v14, s2, v1
	v_add_u32_e32 v7, v7, v11
	v_mul_hi_u32 v10, v1, v14
	v_mul_hi_u32 v13, v1, v7
	v_mul_lo_u32 v12, v1, v7
	v_mov_b32_e32 v11, v6
	v_lshl_add_u64 v[10:11], v[10:11], 0, v[12:13]
	v_mul_hi_u32 v13, v5, v14
	v_mul_lo_u32 v14, v5, v14
	v_add_co_u32_e32 v10, vcc, v10, v14
	v_mul_hi_u32 v12, v5, v7
	s_nop 0
	v_addc_co_u32_e32 v10, vcc, v11, v13, vcc
	v_mov_b32_e32 v11, v6
	s_nop 0
	v_addc_co_u32_e32 v13, vcc, 0, v12, vcc
	v_mul_lo_u32 v12, v5, v7
	v_lshl_add_u64 v[10:11], v[10:11], 0, v[12:13]
	v_add_co_u32_e32 v1, vcc, v1, v10
	v_mul_hi_u32 v10, s2, v1
	s_nop 0
	v_addc_co_u32_e32 v5, vcc, v5, v11, vcc
	v_mul_lo_u32 v7, s2, v5
	v_add_u32_e32 v7, v10, v7
	v_mul_lo_u32 v10, s3, v1
	v_add_u32_e32 v7, v7, v10
	v_mul_lo_u32 v12, s2, v1
	v_mul_hi_u32 v15, v5, v12
	v_mul_lo_u32 v16, v5, v12
	v_mul_hi_u32 v11, v1, v7
	;; [unrolled: 2-line block ×3, first 2 shown]
	v_mov_b32_e32 v13, v6
	v_lshl_add_u64 v[10:11], v[12:13], 0, v[10:11]
	v_add_co_u32_e32 v10, vcc, v10, v16
	v_mul_hi_u32 v14, v5, v7
	s_nop 0
	v_addc_co_u32_e32 v10, vcc, v11, v15, vcc
	v_mul_lo_u32 v12, v5, v7
	s_nop 0
	v_addc_co_u32_e32 v13, vcc, 0, v14, vcc
	v_mov_b32_e32 v11, v6
	v_lshl_add_u64 v[10:11], v[10:11], 0, v[12:13]
	v_add_co_u32_e32 v1, vcc, v1, v10
	v_mul_hi_u32 v12, v8, v1
	s_nop 0
	v_addc_co_u32_e32 v5, vcc, v5, v11, vcc
	v_mad_u64_u32 v[10:11], s[2:3], v8, v5, 0
	v_mov_b32_e32 v13, v6
	v_lshl_add_u64 v[10:11], v[12:13], 0, v[10:11]
	v_mad_u64_u32 v[14:15], s[2:3], v9, v1, 0
	v_add_co_u32_e32 v1, vcc, v10, v14
	v_mad_u64_u32 v[12:13], s[2:3], v9, v5, 0
	s_nop 0
	v_addc_co_u32_e32 v10, vcc, v11, v15, vcc
	v_mov_b32_e32 v11, v6
	s_nop 0
	v_addc_co_u32_e32 v13, vcc, 0, v13, vcc
	v_lshl_add_u64 v[10:11], v[10:11], 0, v[12:13]
	v_mul_lo_u32 v1, s25, v10
	v_mul_lo_u32 v5, s24, v11
	v_mad_u64_u32 v[12:13], s[2:3], s24, v10, 0
	v_add3_u32 v1, v13, v5, v1
	v_sub_u32_e32 v5, v9, v1
	v_mov_b32_e32 v7, s25
	v_sub_co_u32_e32 v16, vcc, v8, v12
	v_lshl_add_u64 v[14:15], v[10:11], 0, 1
	s_nop 0
	v_subb_co_u32_e64 v5, s[2:3], v5, v7, vcc
	v_subrev_co_u32_e64 v7, s[2:3], s24, v16
	v_subb_co_u32_e32 v1, vcc, v9, v1, vcc
	s_nop 0
	v_subbrev_co_u32_e64 v5, s[2:3], 0, v5, s[2:3]
	v_cmp_le_u32_e64 s[2:3], s25, v5
	v_cmp_le_u32_e32 vcc, s25, v1
	s_nop 0
	v_cndmask_b32_e64 v12, 0, -1, s[2:3]
	v_cmp_le_u32_e64 s[2:3], s24, v7
	s_nop 1
	v_cndmask_b32_e64 v7, 0, -1, s[2:3]
	v_cmp_eq_u32_e64 s[2:3], s25, v5
	s_nop 1
	v_cndmask_b32_e64 v5, v12, v7, s[2:3]
	v_lshl_add_u64 v[12:13], v[10:11], 0, 2
	v_cmp_ne_u32_e64 s[2:3], 0, v5
	v_cndmask_b32_e64 v7, 0, -1, vcc
	v_cmp_le_u32_e32 vcc, s24, v16
	v_cndmask_b32_e64 v5, v15, v13, s[2:3]
	s_nop 0
	v_cndmask_b32_e64 v13, 0, -1, vcc
	v_cmp_eq_u32_e32 vcc, s25, v1
	s_nop 1
	v_cndmask_b32_e32 v1, v7, v13, vcc
	v_cmp_ne_u32_e32 vcc, 0, v1
	v_cndmask_b32_e64 v1, v14, v12, s[2:3]
	s_nop 0
	v_cndmask_b32_e32 v69, v11, v5, vcc
	v_cndmask_b32_e32 v68, v10, v1, vcc
.LBB0_4:                                ;   in Loop: Header=BB0_2 Depth=1
	s_andn2_saveexec_b64 s[2:3], s[26:27]
	s_cbranch_execz .LBB0_6
; %bb.5:                                ;   in Loop: Header=BB0_2 Depth=1
	v_cvt_f32_u32_e32 v1, s24
	s_sub_i32 s26, 0, s24
	v_mov_b32_e32 v69, v6
	v_rcp_iflag_f32_e32 v1, v1
	s_nop 0
	v_mul_f32_e32 v1, 0x4f7ffffe, v1
	v_cvt_u32_f32_e32 v1, v1
	v_mul_lo_u32 v5, s26, v1
	v_mul_hi_u32 v5, v1, v5
	v_add_u32_e32 v1, v1, v5
	v_mul_hi_u32 v1, v8, v1
	v_mul_lo_u32 v5, v1, s24
	v_sub_u32_e32 v5, v8, v5
	v_add_u32_e32 v7, 1, v1
	v_subrev_u32_e32 v10, s24, v5
	v_cmp_le_u32_e32 vcc, s24, v5
	s_nop 1
	v_cndmask_b32_e32 v5, v5, v10, vcc
	v_cndmask_b32_e32 v1, v1, v7, vcc
	v_add_u32_e32 v7, 1, v1
	v_cmp_le_u32_e32 vcc, s24, v5
	s_nop 1
	v_cndmask_b32_e32 v68, v1, v7, vcc
.LBB0_6:                                ;   in Loop: Header=BB0_2 Depth=1
	s_or_b64 exec, exec, s[2:3]
	v_mad_u64_u32 v[10:11], s[2:3], v68, s24, 0
	s_load_dwordx2 s[2:3], s[18:19], 0x0
	s_add_u32 s22, s22, 1
	v_mul_lo_u32 v1, v69, s24
	v_mul_lo_u32 v5, v68, s25
	s_load_dwordx2 s[24:25], s[16:17], 0x0
	s_addc_u32 s23, s23, 0
	v_add3_u32 v1, v11, v5, v1
	v_sub_co_u32_e32 v5, vcc, v8, v10
	s_add_u32 s16, s16, 8
	s_nop 0
	v_subb_co_u32_e32 v1, vcc, v9, v1, vcc
	s_addc_u32 s17, s17, 0
	s_waitcnt lgkmcnt(0)
	v_mul_lo_u32 v7, s2, v1
	v_mul_lo_u32 v8, s3, v5
	v_mad_u64_u32 v[2:3], s[2:3], s2, v5, v[2:3]
	s_add_u32 s18, s18, 8
	v_add3_u32 v3, v8, v3, v7
	s_addc_u32 s19, s19, 0
	v_mov_b64_e32 v[8:9], s[10:11]
	v_mul_lo_u32 v1, s24, v1
	v_mul_lo_u32 v7, s25, v5
	v_mad_u64_u32 v[64:65], s[2:3], s24, v5, v[64:65]
	s_add_u32 s20, s20, 8
	v_cmp_ge_u64_e32 vcc, s[22:23], v[8:9]
	v_add3_u32 v65, v7, v65, v1
	s_addc_u32 s21, s21, 0
	s_cbranch_vccnz .LBB0_8
; %bb.7:                                ;   in Loop: Header=BB0_2 Depth=1
	v_mov_b64_e32 v[8:9], v[68:69]
	s_branch .LBB0_2
.LBB0_8:
	s_load_dwordx2 s[0:1], s[0:1], 0x28
	s_lshl_b64 s[10:11], s[10:11], 3
	s_add_u32 s2, s14, s10
	s_mov_b32 s14, 0xaaaaaaab
	v_mul_hi_u32 v1, v4, s14
	v_lshrrev_b32_e32 v1, 1, v1
	v_lshl_add_u32 v1, v1, 1, v1
	s_addc_u32 s3, s15, s11
	v_sub_u32_e32 v1, v4, v1
	s_waitcnt lgkmcnt(0)
	v_cmp_gt_u64_e32 vcc, s[0:1], v[68:69]
	v_cmp_le_u64_e64 s[0:1], s[0:1], v[68:69]
                                        ; implicit-def: $vgpr154
                                        ; implicit-def: $vgpr202
	s_and_saveexec_b64 s[14:15], s[0:1]
	s_xor_b64 s[0:1], exec, s[14:15]
; %bb.9:
	s_mov_b32 s14, 0xf0f0f10
	v_mul_hi_u32 v2, v0, s14
	v_mul_u32_u24_e32 v2, 17, v2
	v_sub_u32_e32 v154, v0, v2
	v_add_u32_e32 v202, 17, v154
                                        ; implicit-def: $vgpr0
                                        ; implicit-def: $vgpr2_vgpr3
; %bb.10:
	s_or_saveexec_b64 s[0:1], s[0:1]
	v_mul_u32_u24_e32 v1, 0x199, v1
	v_lshlrev_b32_e32 v71, 3, v1
	s_xor_b64 exec, exec, s[0:1]
	s_cbranch_execz .LBB0_12
; %bb.11:
	s_add_u32 s10, s12, s10
	s_addc_u32 s11, s13, s11
	s_load_dwordx2 s[10:11], s[10:11], 0x0
	s_mov_b32 s12, 0xf0f0f10
	s_waitcnt lgkmcnt(0)
	v_mul_lo_u32 v1, s11, v68
	v_mul_lo_u32 v6, s10, v69
	v_mad_u64_u32 v[4:5], s[10:11], s10, v68, 0
	v_add3_u32 v5, v5, v6, v1
	v_mul_hi_u32 v1, v0, s12
	v_mul_u32_u24_e32 v1, 17, v1
	v_sub_u32_e32 v154, v0, v1
	v_lshl_add_u64 v[0:1], v[4:5], 3, s[4:5]
	v_lshl_add_u64 v[0:1], v[2:3], 3, v[0:1]
	v_lshlrev_b32_e32 v2, 3, v154
	v_mov_b32_e32 v3, 0
	v_lshl_add_u64 v[0:1], v[0:1], 0, v[2:3]
	global_load_dwordx2 v[4:5], v[0:1], off
	global_load_dwordx2 v[6:7], v[0:1], off offset:136
	global_load_dwordx2 v[8:9], v[0:1], off offset:272
	;; [unrolled: 1-line block ×23, first 2 shown]
	v_add_u32_e32 v202, 17, v154
	v_add3_u32 v0, 0, v71, v2
	v_add_u32_e32 v1, 0x800, v0
	s_waitcnt vmcnt(22)
	ds_write2_b64 v0, v[4:5], v[6:7] offset1:17
	s_waitcnt vmcnt(20)
	ds_write2_b64 v0, v[8:9], v[10:11] offset0:34 offset1:51
	s_waitcnt vmcnt(18)
	ds_write2_b64 v0, v[12:13], v[14:15] offset0:68 offset1:85
	;; [unrolled: 2-line block ×11, first 2 shown]
.LBB0_12:
	s_or_b64 exec, exec, s[0:1]
	v_lshlrev_b32_e32 v155, 3, v154
	v_add_u32_e32 v0, 0, v155
	v_add_u32_e32 v203, v0, v71
	s_load_dwordx2 s[2:3], s[2:3], 0x0
	s_waitcnt lgkmcnt(0)
	; wave barrier
	s_waitcnt lgkmcnt(0)
	ds_read2_b64 v[4:7], v203 offset0:17 offset1:24
	v_add_u32_e32 v0, 0x800, v203
	v_add_u32_e32 v1, 0, v71
	ds_read2_b64 v[8:11], v0 offset0:121 offset1:128
	ds_read2_b64 v[20:23], v203 offset0:41 offset1:48
	;; [unrolled: 1-line block ×5, first 2 shown]
	v_add_u32_e32 v2, v1, v155
	s_mov_b32 s4, 0xbeb8f4ab
	s_waitcnt lgkmcnt(4)
	v_pk_add_f32 v[128:129], v[10:11], v[6:7]
	v_pk_add_f32 v[26:27], v[6:7], v[10:11] neg_lo:[0,1] neg_hi:[0,1]
	s_mov_b32 s5, 0x3f6eb680
	ds_read_b64 v[74:75], v2
	ds_read_b64 a[18:19], v203 offset:3208
	s_mov_b32 s10, 0xbf2c7751
	s_waitcnt lgkmcnt(4)
	v_pk_add_f32 v[126:127], v[14:15], v[22:23]
	v_pk_add_f32 v[28:29], v[22:23], v[14:15] neg_lo:[0,1] neg_hi:[0,1]
	v_mov_b32_e32 v73, v129
	v_mov_b32_e32 v129, v26
	s_mov_b32 s24, s5
	s_mov_b32 s25, s4
	;; [unrolled: 1-line block ×3, first 2 shown]
	v_mov_b32_e32 v72, v27
	v_pk_mul_f32 v[30:31], v[128:129], s[24:25]
	v_mov_b32_e32 v83, v127
	v_mov_b32_e32 v127, v28
	s_mov_b32 s48, s11
	s_mov_b32 s49, s10
	v_accvgpr_write_b32 a2, v2
	v_pk_fma_f32 v[26:27], v[72:73], s[4:5], v[30:31] neg_lo:[1,0,0] neg_hi:[1,0,0]
	v_pk_fma_f32 v[78:79], v[72:73], s[4:5], v[30:31]
	v_mov_b32_e32 v82, v29
	v_pk_mul_f32 v[2:3], v[126:127], s[48:49]
	v_mov_b32_e32 v27, v79
	v_pk_fma_f32 v[28:29], v[82:83], s[10:11], v[2:3] neg_lo:[1,0,0] neg_hi:[1,0,0]
	v_pk_fma_f32 v[84:85], v[82:83], s[10:11], v[2:3]
	s_waitcnt lgkmcnt(2)
	v_pk_add_f32 v[112:113], v[18:19], v[38:39]
	v_pk_add_f32 v[24:25], v[38:39], v[18:19] neg_lo:[0,1] neg_hi:[0,1]
	v_accvgpr_write_b32 a16, v30
	s_waitcnt lgkmcnt(1)
	v_pk_add_f32 v[26:27], v[74:75], v[26:27]
	v_mov_b32_e32 v29, v85
	s_mov_b32 s12, 0xbf65296c
	v_accvgpr_write_b32 a17, v31
	v_pk_add_f32 v[32:33], v[28:29], v[26:27]
	v_mov_b32_e32 v88, v25
	v_mov_b32_e32 v89, v113
	s_mov_b32 s13, 0x3ee437d1
	v_mov_b32_e32 v113, v24
	ds_read2_b64 v[28:31], v203 offset0:89 offset1:96
	ds_read2_b64 v[24:27], v0 offset0:49 offset1:56
	v_accvgpr_write_b32 a31, v3
	s_mov_b32 s52, s13
	s_mov_b32 s53, s12
	v_accvgpr_write_b32 a30, v2
	v_pk_mul_f32 v[2:3], v[112:113], s[52:53]
	s_waitcnt lgkmcnt(0)
	v_pk_add_f32 v[136:137], v[26:27], v[30:31]
	v_pk_fma_f32 v[34:35], v[88:89], s[12:13], v[2:3] neg_lo:[1,0,0] neg_hi:[1,0,0]
	v_pk_fma_f32 v[92:93], v[88:89], s[12:13], v[2:3]
	s_mov_b32 s14, 0xbf7ee86f
	v_mov_b32_e32 v35, v93
	v_pk_add_f32 v[40:41], v[34:35], v[32:33]
	v_pk_add_f32 v[32:33], v[30:31], v[26:27] neg_lo:[0,1] neg_hi:[0,1]
	v_mov_b32_e32 v95, v137
	v_mov_b32_e32 v94, v33
	v_mov_b32_e32 v137, v32
	s_mov_b32 s15, 0x3dbcf732
	ds_read2_b64 v[130:133], v203 offset0:113 offset1:120
	ds_read2_b64 v[32:35], v0 offset0:25 offset1:32
	v_accvgpr_write_b32 a33, v3
	s_mov_b32 s46, s15
	s_mov_b32 s47, s14
	v_accvgpr_write_b32 a32, v2
	v_pk_mul_f32 v[2:3], v[136:137], s[46:47]
	s_waitcnt lgkmcnt(0)
	v_pk_add_f32 v[140:141], v[34:35], v[132:133]
	v_pk_fma_f32 v[42:43], v[94:95], s[14:15], v[2:3] neg_lo:[1,0,0] neg_hi:[1,0,0]
	v_pk_fma_f32 v[98:99], v[94:95], s[14:15], v[2:3]
	s_mov_b32 s16, 0xbf763a35
	v_mov_b32_e32 v43, v99
	v_pk_add_f32 v[48:49], v[42:43], v[40:41]
	v_pk_add_f32 v[40:41], v[132:133], v[34:35] neg_lo:[0,1] neg_hi:[0,1]
	v_mov_b32_e32 v101, v141
	v_mov_b32_e32 v100, v41
	v_mov_b32_e32 v141, v40
	s_mov_b32 s17, 0xbe8c1d8e
	;; [unrolled: 19-line block ×4, first 2 shown]
	ds_read2_b64 v[56:59], v203 offset0:185 offset1:192
	ds_read2_b64 v[60:63], v203 offset0:209 offset1:216
	v_accvgpr_write_b32 a39, v3
	s_mov_b32 s44, s21
	s_mov_b32 s45, s20
	v_accvgpr_write_b32 a38, v2
	v_pk_mul_f32 v[2:3], v[144:145], s[44:45]
	s_mov_b32 s22, 0xbe3c28d5
	v_pk_fma_f32 v[80:81], v[114:115], s[20:21], v[2:3] neg_lo:[1,0,0] neg_hi:[1,0,0]
	v_pk_fma_f32 v[118:119], v[114:115], s[20:21], v[2:3]
	s_waitcnt lgkmcnt(0)
	v_pk_add_f32 v[150:151], v[62:63], v[58:59]
	v_mov_b32_e32 v81, v119
	v_pk_add_f32 v[76:77], v[80:81], v[76:77]
	v_pk_add_f32 v[80:81], v[58:59], v[62:63] neg_lo:[0,1] neg_hi:[0,1]
	s_mov_b32 s23, 0xbf7ba420
	v_accvgpr_write_b32 a41, v3
	v_mov_b32_e32 v121, v151
	v_mov_b32_e32 v151, v80
	s_mov_b32 s50, s23
	s_mov_b32 s51, s22
	v_accvgpr_write_b32 a40, v2
	v_pk_mul_f32 v[2:3], v[150:151], s[50:51]
	v_mov_b32_e32 v120, v81
	v_accvgpr_write_b32 a43, v3
	v_pk_fma_f32 v[80:81], v[120:121], s[22:23], v[2:3] neg_lo:[1,0,0] neg_hi:[1,0,0]
	v_pk_fma_f32 v[122:123], v[120:121], s[22:23], v[2:3]
	v_accvgpr_write_b32 a42, v2
	v_pk_add_f32 v[2:3], v[74:75], v[6:7]
	s_movk_i32 s0, 0x88
	v_pk_add_f32 v[2:3], v[2:3], v[22:23]
	v_accvgpr_write_b32 a3, v0
	v_pk_add_f32 v[2:3], v[2:3], v[38:39]
	v_mov_b32_e32 v81, v123
	v_pk_add_f32 v[2:3], v[2:3], v[30:31]
	v_accvgpr_write_b32 a1, v1
	v_pk_add_f32 v[2:3], v[2:3], v[132:133]
	v_mad_u32_u24 v70, v154, s0, v1
	v_pk_add_f32 v[2:3], v[2:3], v[46:47]
	v_pk_mul_f32 v[0:1], v[128:129], s[48:49]
	v_pk_add_f32 v[2:3], v[2:3], v[54:55]
	v_pk_add_f32 v[76:77], v[80:81], v[76:77]
	;; [unrolled: 1-line block ×3, first 2 shown]
	v_accvgpr_write_b32 a45, v1
	v_pk_add_f32 v[2:3], v[2:3], v[62:63]
	s_nop 0
	v_pk_add_f32 v[2:3], v[2:3], v[50:51]
	; wave barrier
	s_nop 0
	v_pk_add_f32 v[2:3], v[2:3], v[42:43]
	v_accvgpr_write_b32 a44, v0
	v_pk_add_f32 v[2:3], v[2:3], v[34:35]
	s_mov_b32 s26, 0x3f06c442
	v_pk_add_f32 v[2:3], v[2:3], v[26:27]
	s_mov_b32 s66, s21
	v_pk_add_f32 v[2:3], v[2:3], v[18:19]
	v_pk_fma_f32 v[18:19], v[72:73], s[10:11], v[0:1] neg_lo:[1,0,0] neg_hi:[1,0,0]
	v_pk_add_f32 v[2:3], v[2:3], v[14:15]
	s_mov_b32 s67, s26
	v_pk_add_f32 v[2:3], v[2:3], v[10:11]
	ds_write2_b64 v70, v[2:3], v[76:77] offset1:1
	v_pk_fma_f32 v[2:3], v[72:73], s[10:11], v[0:1]
	v_pk_mul_f32 v[0:1], v[126:127], s[46:47]
	v_mov_b32_e32 v19, v3
	v_accvgpr_write_b32 a47, v1
	v_pk_fma_f32 v[22:23], v[82:83], s[14:15], v[0:1] neg_lo:[1,0,0] neg_hi:[1,0,0]
	v_pk_fma_f32 v[6:7], v[82:83], s[14:15], v[0:1]
	v_accvgpr_write_b32 a46, v0
	v_pk_mul_f32 v[0:1], v[112:113], s[38:39]
	v_mov_b32_e32 v23, v7
	v_pk_add_f32 v[18:19], v[74:75], v[18:19]
	v_accvgpr_write_b32 a49, v1
	v_pk_add_f32 v[22:23], v[22:23], v[18:19]
	v_pk_fma_f32 v[26:27], v[88:89], s[18:19], v[0:1] neg_lo:[1,0,0] neg_hi:[1,0,0]
	v_pk_fma_f32 v[18:19], v[88:89], s[18:19], v[0:1]
	v_accvgpr_write_b32 a48, v0
	v_pk_mul_f32 v[0:1], v[136:137], s[50:51]
	v_mov_b32_e32 v27, v19
	v_accvgpr_write_b32 a51, v1
	v_pk_add_f32 v[26:27], v[26:27], v[22:23]
	v_pk_fma_f32 v[38:39], v[94:95], s[22:23], v[0:1] neg_lo:[1,0,0] neg_hi:[1,0,0]
	v_pk_fma_f32 v[22:23], v[94:95], s[22:23], v[0:1]
	v_accvgpr_write_b32 a50, v0
	v_pk_mul_f32 v[0:1], v[140:141], s[66:67]
	s_mov_b32 s28, 0x3f763a35
	v_mov_b32_e32 v39, v23
	s_mov_b32 s27, s21
	v_accvgpr_write_b32 a53, v1
	s_mov_b32 s64, s17
	s_mov_b32 s65, s28
	v_pk_add_f32 v[38:39], v[38:39], v[26:27]
	v_pk_fma_f32 v[46:47], v[100:101], s[26:27], v[0:1] neg_lo:[1,0,0] neg_hi:[1,0,0]
	v_pk_fma_f32 v[26:27], v[100:101], s[26:27], v[0:1]
	v_accvgpr_write_b32 a52, v0
	v_pk_mul_f32 v[0:1], v[142:143], s[64:65]
	s_mov_b32 s30, 0x3f65296c
	v_mov_b32_e32 v47, v27
	s_mov_b32 s29, s17
	v_accvgpr_write_b32 a55, v1
	s_mov_b32 s56, s13
	s_mov_b32 s57, s30
	v_pk_add_f32 v[46:47], v[46:47], v[38:39]
	v_pk_fma_f32 v[54:55], v[106:107], s[28:29], v[0:1] neg_lo:[1,0,0] neg_hi:[1,0,0]
	v_pk_fma_f32 v[38:39], v[106:107], s[28:29], v[0:1]
	v_accvgpr_write_b32 a54, v0
	v_pk_mul_f32 v[0:1], v[144:145], s[56:57]
	s_mov_b32 s34, 0x3eb8f4ab
	v_mov_b32_e32 v55, v39
	s_mov_b32 s31, s13
	v_accvgpr_write_b32 a57, v1
	s_mov_b32 s58, s5
	s_mov_b32 s59, s34
	v_pk_add_f32 v[54:55], v[54:55], v[46:47]
	v_pk_fma_f32 v[62:63], v[114:115], s[30:31], v[0:1] neg_lo:[1,0,0] neg_hi:[1,0,0]
	v_pk_fma_f32 v[46:47], v[114:115], s[30:31], v[0:1]
	v_accvgpr_write_b32 a56, v0
	v_pk_mul_f32 v[0:1], v[150:151], s[58:59]
	v_mov_b32_e32 v63, v47
	s_mov_b32 s35, s5
	v_accvgpr_write_b32 a59, v1
	v_pk_add_f32 v[76:77], v[62:63], v[54:55]
	v_pk_fma_f32 v[80:81], v[120:121], s[34:35], v[0:1] neg_lo:[1,0,0] neg_hi:[1,0,0]
	v_pk_fma_f32 v[54:55], v[120:121], s[34:35], v[0:1]
	v_accvgpr_write_b32 a58, v0
	v_pk_mul_f32 v[0:1], v[128:129], s[52:53]
	v_mov_b32_e32 v81, v55
	v_accvgpr_write_b32 a61, v1
	v_accvgpr_write_b32 a26, v130
	v_pk_add_f32 v[76:77], v[80:81], v[76:77]
	v_pk_fma_f32 v[80:81], v[72:73], s[12:13], v[0:1] neg_lo:[1,0,0] neg_hi:[1,0,0]
	v_pk_fma_f32 v[242:243], v[72:73], s[12:13], v[0:1]
	v_accvgpr_write_b32 a60, v0
	v_pk_mul_f32 v[0:1], v[126:127], s[38:39]
	s_mov_b32 s40, 0x3e3c28d5
	v_accvgpr_write_b32 a27, v131
	v_mov_b32_e32 v81, v243
	v_pk_fma_f32 v[86:87], v[82:83], s[18:19], v[0:1] neg_lo:[1,0,0] neg_hi:[1,0,0]
	v_pk_fma_f32 v[130:131], v[82:83], s[18:19], v[0:1]
	v_accvgpr_write_b32 a63, v1
	s_mov_b32 s72, s23
	s_mov_b32 s73, s40
	v_accvgpr_write_b32 a62, v0
	v_mov_b32_e32 v87, v131
	v_pk_add_f32 v[80:81], v[74:75], v[80:81]
	s_mov_b32 s41, s23
	v_pk_mul_f32 v[0:1], v[112:113], s[72:73]
	v_pk_add_f32 v[80:81], v[86:87], v[80:81]
	v_pk_fma_f32 v[86:87], v[88:89], s[40:41], v[0:1] neg_lo:[1,0,0] neg_hi:[1,0,0]
	v_pk_fma_f32 v[146:147], v[88:89], s[40:41], v[0:1]
	v_accvgpr_write_b32 a65, v1
	v_accvgpr_write_b32 a64, v0
	v_mov_b32_e32 v87, v147
	v_pk_mul_f32 v[0:1], v[136:137], s[64:65]
	s_mov_b32 s42, 0x3f2c7751
	v_pk_add_f32 v[80:81], v[86:87], v[80:81]
	v_pk_fma_f32 v[86:87], v[94:95], s[28:29], v[0:1] neg_lo:[1,0,0] neg_hi:[1,0,0]
	v_pk_fma_f32 v[170:171], v[94:95], s[28:29], v[0:1]
	v_accvgpr_write_b32 a67, v1
	s_mov_b32 s60, s11
	s_mov_b32 s61, s42
	v_accvgpr_write_b32 a66, v0
	v_mov_b32_e32 v87, v171
	s_mov_b32 s43, s11
	v_pk_mul_f32 v[0:1], v[140:141], s[60:61]
	v_pk_add_f32 v[80:81], v[86:87], v[80:81]
	v_pk_fma_f32 v[86:87], v[100:101], s[42:43], v[0:1] neg_lo:[1,0,0] neg_hi:[1,0,0]
	v_pk_fma_f32 v[148:149], v[100:101], s[42:43], v[0:1]
	v_pk_mul_f32 v[132:133], v[142:143], s[24:25]
	v_mov_b32_e32 v87, v149
	v_pk_add_f32 v[80:81], v[86:87], v[80:81]
	v_pk_fma_f32 v[86:87], v[106:107], s[4:5], v[132:133] neg_lo:[1,0,0] neg_hi:[1,0,0]
	v_pk_fma_f32 v[152:153], v[106:107], s[4:5], v[132:133]
	v_pk_mul_f32 v[156:157], v[144:145], s[46:47]
	v_mov_b32_e32 v87, v153
	;; [unrolled: 5-line block ×4, first 2 shown]
	v_pk_add_f32 v[80:81], v[86:87], v[80:81]
	ds_write2_b64 v70, v[76:77], v[80:81] offset0:2 offset1:3
	v_pk_fma_f32 v[76:77], v[72:73], s[14:15], v[62:63] neg_lo:[1,0,0] neg_hi:[1,0,0]
	v_pk_fma_f32 v[172:173], v[72:73], s[14:15], v[62:63]
	v_pk_mul_f32 v[178:179], v[126:127], s[50:51]
	v_mov_b32_e32 v77, v173
	v_pk_fma_f32 v[80:81], v[82:83], s[22:23], v[178:179] neg_lo:[1,0,0] neg_hi:[1,0,0]
	v_pk_fma_f32 v[174:175], v[82:83], s[22:23], v[178:179]
	v_pk_add_f32 v[76:77], v[74:75], v[76:77]
	v_mov_b32_e32 v81, v175
	v_pk_mul_f32 v[190:191], v[112:113], s[64:65]
	v_pk_add_f32 v[76:77], v[80:81], v[76:77]
	v_pk_fma_f32 v[80:81], v[88:89], s[28:29], v[190:191] neg_lo:[1,0,0] neg_hi:[1,0,0]
	v_pk_fma_f32 v[180:181], v[88:89], s[28:29], v[190:191]
	v_pk_mul_f32 v[58:59], v[136:137], s[58:59]
	v_mov_b32_e32 v81, v181
	v_accvgpr_write_b32 a69, v1
	v_pk_add_f32 v[76:77], v[80:81], v[76:77]
	v_pk_fma_f32 v[80:81], v[94:95], s[34:35], v[58:59] neg_lo:[1,0,0] neg_hi:[1,0,0]
	v_pk_fma_f32 v[182:183], v[94:95], s[34:35], v[58:59]
	v_accvgpr_write_b32 a68, v0
	v_mov_b32_e32 v81, v183
	v_pk_mul_f32 v[0:1], v[140:141], s[52:53]
	v_pk_add_f32 v[76:77], v[80:81], v[76:77]
	v_pk_fma_f32 v[80:81], v[100:101], s[12:13], v[0:1] neg_lo:[1,0,0] neg_hi:[1,0,0]
	v_pk_fma_f32 v[184:185], v[100:101], s[12:13], v[0:1]
	v_pk_mul_f32 v[50:51], v[142:143], s[44:45]
	v_mov_b32_e32 v81, v185
	s_mov_b32 s54, 0x3f4c4adb
	v_pk_add_f32 v[76:77], v[80:81], v[76:77]
	v_pk_fma_f32 v[80:81], v[106:107], s[20:21], v[50:51] neg_lo:[1,0,0] neg_hi:[1,0,0]
	v_pk_fma_f32 v[186:187], v[106:107], s[20:21], v[50:51]
	s_mov_b32 s70, s19
	s_mov_b32 s71, s54
	v_mov_b32_e32 v81, v187
	s_mov_b32 s55, s19
	v_pk_mul_f32 v[66:67], v[144:145], s[70:71]
	v_pk_add_f32 v[76:77], v[80:81], v[76:77]
	v_pk_fma_f32 v[80:81], v[114:115], s[54:55], v[66:67] neg_lo:[1,0,0] neg_hi:[1,0,0]
	v_pk_fma_f32 v[192:193], v[114:115], s[54:55], v[66:67]
	v_pk_mul_f32 v[42:43], v[150:151], s[60:61]
	v_mov_b32_e32 v81, v193
	v_pk_add_f32 v[76:77], v[80:81], v[76:77]
	v_pk_fma_f32 v[80:81], v[120:121], s[42:43], v[42:43] neg_lo:[1,0,0] neg_hi:[1,0,0]
	v_pk_fma_f32 v[198:199], v[120:121], s[42:43], v[42:43]
	v_pk_mul_f32 v[210:211], v[128:129], s[36:37]
	v_mov_b32_e32 v81, v199
	;; [unrolled: 5-line block ×3, first 2 shown]
	v_pk_fma_f32 v[86:87], v[82:83], s[26:27], v[34:35] neg_lo:[1,0,0] neg_hi:[1,0,0]
	v_pk_fma_f32 v[206:207], v[82:83], s[26:27], v[34:35]
	v_pk_add_f32 v[80:81], v[74:75], v[80:81]
	v_mov_b32_e32 v87, v207
	v_pk_mul_f32 v[222:223], v[112:113], s[60:61]
	v_pk_add_f32 v[80:81], v[86:87], v[80:81]
	v_pk_fma_f32 v[86:87], v[88:89], s[42:43], v[222:223] neg_lo:[1,0,0] neg_hi:[1,0,0]
	v_pk_fma_f32 v[212:213], v[88:89], s[42:43], v[222:223]
	v_pk_mul_f32 v[30:31], v[136:137], s[52:53]
	v_mov_b32_e32 v87, v213
	v_pk_add_f32 v[80:81], v[86:87], v[80:81]
	v_pk_fma_f32 v[86:87], v[94:95], s[12:13], v[30:31] neg_lo:[1,0,0] neg_hi:[1,0,0]
	v_pk_fma_f32 v[214:215], v[94:95], s[12:13], v[30:31]
	v_pk_mul_f32 v[226:227], v[140:141], s[50:51]
	v_mov_b32_e32 v87, v215
	s_mov_b32 s62, 0x3f7ee86f
	v_pk_add_f32 v[80:81], v[86:87], v[80:81]
	v_pk_fma_f32 v[86:87], v[100:101], s[22:23], v[226:227] neg_lo:[1,0,0] neg_hi:[1,0,0]
	v_pk_fma_f32 v[216:217], v[100:101], s[22:23], v[226:227]
	s_mov_b32 s68, s15
	s_mov_b32 s69, s62
	v_mov_b32_e32 v87, v217
	s_mov_b32 s63, s15
	v_pk_mul_f32 v[234:235], v[142:143], s[68:69]
	v_pk_add_f32 v[80:81], v[86:87], v[80:81]
	v_pk_fma_f32 v[86:87], v[106:107], s[62:63], v[234:235] neg_lo:[1,0,0] neg_hi:[1,0,0]
	v_pk_fma_f32 v[218:219], v[106:107], s[62:63], v[234:235]
	v_pk_mul_f32 v[14:15], v[144:145], s[24:25]
	v_mov_b32_e32 v87, v219
	v_pk_add_f32 v[80:81], v[86:87], v[80:81]
	v_pk_fma_f32 v[86:87], v[114:115], s[4:5], v[14:15] neg_lo:[1,0,0] neg_hi:[1,0,0]
	v_pk_fma_f32 v[224:225], v[114:115], s[4:5], v[14:15]
	v_pk_mul_f32 v[10:11], v[150:151], s[38:39]
	v_mov_b32_e32 v87, v225
	;; [unrolled: 5-line block ×3, first 2 shown]
	v_pk_add_f32 v[80:81], v[86:87], v[80:81]
	ds_write2_b64 v70, v[76:77], v[80:81] offset0:4 offset1:5
	v_pk_fma_f32 v[76:77], v[72:73], s[18:19], v[240:241] neg_lo:[1,0,0] neg_hi:[1,0,0]
	v_pk_fma_f32 v[236:237], v[72:73], s[18:19], v[240:241]
	v_pk_mul_f32 v[134:135], v[126:127], s[64:65]
	v_mov_b32_e32 v77, v237
	v_pk_fma_f32 v[80:81], v[82:83], s[28:29], v[134:135] neg_lo:[1,0,0] neg_hi:[1,0,0]
	v_pk_fma_f32 v[238:239], v[82:83], s[28:29], v[134:135]
	v_pk_add_f32 v[76:77], v[74:75], v[76:77]
	v_mov_b32_e32 v81, v239
	v_pk_mul_f32 v[254:255], v[112:113], s[24:25]
	v_pk_add_f32 v[76:77], v[80:81], v[76:77]
	v_pk_fma_f32 v[80:81], v[88:89], s[4:5], v[254:255] neg_lo:[1,0,0] neg_hi:[1,0,0]
	v_pk_fma_f32 v[244:245], v[88:89], s[4:5], v[254:255]
	v_pk_mul_f32 v[116:117], v[144:145], s[50:51]
	v_mov_b32_e32 v81, v245
	v_pk_add_f32 v[76:77], v[80:81], v[76:77]
	v_pk_mul_f32 v[80:81], v[136:137], s[44:45]
	v_pk_fma_f32 v[96:97], v[114:115], s[22:23], v[116:117]
	v_pk_fma_f32 v[86:87], v[94:95], s[20:21], v[80:81] neg_lo:[1,0,0] neg_hi:[1,0,0]
	v_pk_fma_f32 v[246:247], v[94:95], s[20:21], v[80:81]
	v_pk_mul_f32 v[102:103], v[150:151], s[56:57]
	v_mov_b32_e32 v87, v247
	v_pk_add_f32 v[76:77], v[86:87], v[76:77]
	v_pk_mul_f32 v[86:87], v[140:141], s[68:69]
	v_pk_fma_f32 v[124:125], v[120:121], s[30:31], v[102:103]
	v_pk_fma_f32 v[90:91], v[100:101], s[62:63], v[86:87] neg_lo:[1,0,0] neg_hi:[1,0,0]
	v_pk_fma_f32 v[248:249], v[100:101], s[62:63], v[86:87]
	v_accvgpr_write_b32 a4, v4
	v_mov_b32_e32 v91, v249
	v_pk_add_f32 v[76:77], v[90:91], v[76:77]
	v_pk_mul_f32 v[90:91], v[142:143], s[48:49]
	v_pk_mul_f32 v[158:159], v[126:127], s[56:57]
	v_pk_fma_f32 v[252:253], v[106:107], s[10:11], v[90:91] neg_lo:[1,0,0] neg_hi:[1,0,0]
	v_pk_fma_f32 v[250:251], v[106:107], s[10:11], v[90:91]
	v_accvgpr_write_b32 a5, v5
	v_mov_b32_e32 v253, v251
	v_pk_add_f32 v[76:77], v[252:253], v[76:77]
	v_pk_fma_f32 v[252:253], v[114:115], s[22:23], v[116:117] neg_lo:[1,0,0] neg_hi:[1,0,0]
	v_pk_fma_f32 v[176:177], v[82:83], s[30:31], v[158:159] neg_lo:[1,0,0] neg_hi:[1,0,0]
	v_mov_b32_e32 v253, v97
	v_pk_add_f32 v[252:253], v[252:253], v[76:77]
	v_pk_fma_f32 v[76:77], v[120:121], s[30:31], v[102:103] neg_lo:[1,0,0] neg_hi:[1,0,0]
	v_pk_fma_f32 v[4:5], v[82:83], s[30:31], v[158:159]
	v_mov_b32_e32 v77, v125
	v_pk_add_f32 v[76:77], v[76:77], v[252:253]
	v_pk_mul_f32 v[252:253], v[128:129], s[44:45]
	v_mov_b32_e32 v177, v5
	v_pk_fma_f32 v[108:109], v[72:73], s[20:21], v[252:253] neg_lo:[1,0,0] neg_hi:[1,0,0]
	v_pk_fma_f32 v[138:139], v[72:73], s[20:21], v[252:253]
	v_accvgpr_write_b32 a8, v12
	v_mov_b32_e32 v109, v139
	v_pk_add_f32 v[108:109], v[74:75], v[108:109]
	v_accvgpr_write_b32 a6, v8
	v_pk_add_f32 v[108:109], v[176:177], v[108:109]
	v_pk_mul_f32 v[176:177], v[112:113], s[46:47]
	v_accvgpr_write_b32 a9, v13
	v_pk_fma_f32 v[164:165], v[88:89], s[14:15], v[176:177] neg_lo:[1,0,0] neg_hi:[1,0,0]
	v_pk_fma_f32 v[166:167], v[88:89], s[14:15], v[176:177]
	v_accvgpr_write_b32 a7, v9
	v_mov_b32_e32 v165, v167
	v_pk_add_f32 v[108:109], v[164:165], v[108:109]
	v_pk_mul_f32 v[164:165], v[136:137], s[70:71]
	v_accvgpr_write_b32 a12, v20
	v_pk_fma_f32 v[168:169], v[94:95], s[54:55], v[164:165] neg_lo:[1,0,0] neg_hi:[1,0,0]
	v_pk_fma_f32 v[188:189], v[94:95], s[54:55], v[164:165]
	v_accvgpr_write_b32 a10, v16
	v_mov_b32_e32 v169, v189
	;; [unrolled: 7-line block ×4, first 2 shown]
	v_pk_add_f32 v[8:9], v[8:9], v[108:109]
	v_pk_mul_f32 v[108:109], v[144:145], s[60:61]
	v_pk_mul_f32 v[126:127], v[126:127], s[58:59]
	v_pk_fma_f32 v[16:17], v[114:115], s[42:43], v[108:109] neg_lo:[1,0,0] neg_hi:[1,0,0]
	v_pk_fma_f32 v[20:21], v[114:115], s[42:43], v[108:109]
	v_pk_fma_f32 v[220:221], v[82:83], s[34:35], v[126:127]
	v_mov_b32_e32 v17, v21
	v_pk_add_f32 v[8:9], v[16:17], v[8:9]
	v_pk_mul_f32 v[16:17], v[150:151], s[36:37]
	v_pk_mul_f32 v[112:113], v[112:113], s[44:45]
	v_pk_fma_f32 v[24:25], v[120:121], s[16:17], v[16:17] neg_lo:[1,0,0] neg_hi:[1,0,0]
	v_pk_fma_f32 v[208:209], v[120:121], s[16:17], v[16:17]
	v_pk_fma_f32 v[230:231], v[88:89], s[20:21], v[112:113]
	v_mov_b32_e32 v25, v209
	v_pk_add_f32 v[8:9], v[24:25], v[8:9]
	ds_write2_b64 v70, v[76:77], v[8:9] offset0:6 offset1:7
	v_pk_mul_f32 v[8:9], v[128:129], s[50:51]
	v_pk_fma_f32 v[128:129], v[82:83], s[34:35], v[126:127] neg_lo:[1,0,0] neg_hi:[1,0,0]
	v_pk_fma_f32 v[24:25], v[72:73], s[22:23], v[8:9] neg_lo:[1,0,0] neg_hi:[1,0,0]
	v_pk_fma_f32 v[76:77], v[72:73], s[22:23], v[8:9]
	v_mov_b32_e32 v129, v221
	v_mov_b32_e32 v25, v77
	v_pk_add_f32 v[24:25], v[74:75], v[24:25]
	v_accvgpr_write_b32 a22, v28
	v_pk_add_f32 v[24:25], v[128:129], v[24:25]
	v_pk_fma_f32 v[128:129], v[88:89], s[20:21], v[112:113] neg_lo:[1,0,0] neg_hi:[1,0,0]
	v_accvgpr_write_b32 a23, v29
	v_mov_b32_e32 v129, v231
	v_pk_add_f32 v[24:25], v[128:129], v[24:25]
	v_pk_mul_f32 v[128:129], v[136:137], s[60:61]
	v_accvgpr_write_b32 a24, v32
	v_pk_fma_f32 v[136:137], v[94:95], s[42:43], v[128:129] neg_lo:[1,0,0] neg_hi:[1,0,0]
	v_pk_fma_f32 v[232:233], v[94:95], s[42:43], v[128:129]
	v_pk_fma_f32 v[8:9], v[72:73], s[22:23], v[8:9] neg_lo:[0,0,1] neg_hi:[0,0,1]
	v_mov_b32_e32 v137, v233
	v_pk_add_f32 v[24:25], v[136:137], v[24:25]
	v_pk_mul_f32 v[136:137], v[140:141], s[38:39]
	v_accvgpr_write_b32 a25, v33
	v_pk_fma_f32 v[140:141], v[100:101], s[18:19], v[136:137] neg_lo:[1,0,0] neg_hi:[1,0,0]
	v_pk_fma_f32 v[28:29], v[100:101], s[18:19], v[136:137]
	v_mov_b32_e32 v77, v9
	v_mov_b32_e32 v141, v29
	v_pk_add_f32 v[24:25], v[140:141], v[24:25]
	v_pk_mul_f32 v[140:141], v[142:143], s[56:57]
	v_pk_fma_f32 v[8:9], v[82:83], s[34:35], v[126:127] neg_lo:[0,0,1] neg_hi:[0,0,1]
	v_pk_fma_f32 v[142:143], v[106:107], s[30:31], v[140:141] neg_lo:[1,0,0] neg_hi:[1,0,0]
	v_pk_fma_f32 v[32:33], v[106:107], s[30:31], v[140:141]
	v_mov_b32_e32 v221, v9
	v_mov_b32_e32 v143, v33
	v_pk_fma_f32 v[8:9], v[88:89], s[20:21], v[112:113] neg_lo:[0,0,1] neg_hi:[0,0,1]
	v_accvgpr_write_b32 a14, v36
	v_pk_add_f32 v[24:25], v[142:143], v[24:25]
	v_pk_mul_f32 v[142:143], v[144:145], s[36:37]
	v_mov_b32_e32 v231, v9
	v_pk_fma_f32 v[8:9], v[94:95], s[42:43], v[128:129] neg_lo:[0,0,1] neg_hi:[0,0,1]
	v_accvgpr_write_b32 a15, v37
	v_pk_fma_f32 v[144:145], v[114:115], s[16:17], v[142:143] neg_lo:[1,0,0] neg_hi:[1,0,0]
	v_pk_fma_f32 v[36:37], v[114:115], s[16:17], v[142:143]
	v_mov_b32_e32 v233, v9
	v_pk_fma_f32 v[8:9], v[100:101], s[18:19], v[136:137] neg_lo:[0,0,1] neg_hi:[0,0,1]
	v_mov_b32_e32 v145, v37
	v_mov_b32_e32 v29, v9
	v_pk_fma_f32 v[8:9], v[106:107], s[30:31], v[140:141] neg_lo:[0,0,1] neg_hi:[0,0,1]
	v_accvgpr_write_b32 a28, v40
	v_pk_add_f32 v[24:25], v[144:145], v[24:25]
	v_pk_mul_f32 v[144:145], v[150:151], s[68:69]
	v_mov_b32_e32 v33, v9
	v_pk_fma_f32 v[8:9], v[114:115], s[16:17], v[142:143] neg_lo:[0,0,1] neg_hi:[0,0,1]
	v_accvgpr_write_b32 a29, v41
	v_pk_fma_f32 v[150:151], v[120:121], s[62:63], v[144:145] neg_lo:[1,0,0] neg_hi:[1,0,0]
	v_pk_fma_f32 v[40:41], v[120:121], s[62:63], v[144:145]
	v_mov_b32_e32 v37, v9
	v_pk_fma_f32 v[8:9], v[120:121], s[62:63], v[144:145] neg_lo:[0,0,1] neg_hi:[0,0,1]
	v_mov_b32_e32 v151, v41
	v_mov_b32_e32 v41, v9
	v_pk_add_f32 v[8:9], v[74:75], v[76:77]
	v_pk_add_f32 v[24:25], v[150:151], v[24:25]
	;; [unrolled: 1-line block ×3, first 2 shown]
	v_cmp_gt_u32_e64 s[0:1], 7, v154
	v_pk_add_f32 v[8:9], v[230:231], v[8:9]
	s_nop 0
	v_pk_add_f32 v[8:9], v[232:233], v[8:9]
	s_nop 0
	;; [unrolled: 2-line block ×5, first 2 shown]
	v_pk_add_f32 v[8:9], v[40:41], v[8:9]
	ds_write2_b64 v70, v[24:25], v[8:9] offset0:8 offset1:9
	v_pk_fma_f32 v[8:9], v[72:73], s[20:21], v[252:253] neg_lo:[0,0,1] neg_hi:[0,0,1]
	s_nop 0
	v_mov_b32_e32 v139, v9
	v_pk_fma_f32 v[8:9], v[82:83], s[30:31], v[158:159] neg_lo:[0,0,1] neg_hi:[0,0,1]
	s_nop 0
	v_mov_b32_e32 v5, v9
	;; [unrolled: 3-line block ×8, first 2 shown]
	v_pk_add_f32 v[8:9], v[74:75], v[138:139]
	s_nop 0
	v_pk_add_f32 v[4:5], v[4:5], v[8:9]
	v_pk_fma_f32 v[8:9], v[72:73], s[18:19], v[240:241] neg_lo:[0,0,1] neg_hi:[0,0,1]
	v_pk_add_f32 v[4:5], v[166:167], v[4:5]
	v_mov_b32_e32 v237, v9
	v_pk_fma_f32 v[8:9], v[82:83], s[28:29], v[134:135] neg_lo:[0,0,1] neg_hi:[0,0,1]
	v_pk_add_f32 v[4:5], v[188:189], v[4:5]
	v_mov_b32_e32 v239, v9
	;; [unrolled: 3-line block ×6, first 2 shown]
	v_pk_fma_f32 v[8:9], v[114:115], s[22:23], v[116:117] neg_lo:[0,0,1] neg_hi:[0,0,1]
	s_nop 0
	v_mov_b32_e32 v97, v9
	v_pk_fma_f32 v[8:9], v[120:121], s[30:31], v[102:103] neg_lo:[0,0,1] neg_hi:[0,0,1]
	s_nop 0
	v_mov_b32_e32 v125, v9
	v_pk_add_f32 v[8:9], v[74:75], v[236:237]
	s_nop 0
	v_pk_add_f32 v[8:9], v[238:239], v[8:9]
	s_nop 0
	v_pk_add_f32 v[8:9], v[244:245], v[8:9]
	s_nop 0
	v_pk_add_f32 v[8:9], v[246:247], v[8:9]
	s_nop 0
	v_pk_add_f32 v[8:9], v[248:249], v[8:9]
	s_nop 0
	v_pk_add_f32 v[8:9], v[250:251], v[8:9]
	s_nop 0
	v_pk_add_f32 v[8:9], v[96:97], v[8:9]
	s_nop 0
	v_pk_add_f32 v[8:9], v[124:125], v[8:9]
	ds_write2_b64 v70, v[4:5], v[8:9] offset0:10 offset1:11
	v_pk_fma_f32 v[4:5], v[72:73], s[16:17], v[210:211] neg_lo:[0,0,1] neg_hi:[0,0,1]
	v_pk_fma_f32 v[8:9], v[72:73], s[14:15], v[62:63] neg_lo:[0,0,1] neg_hi:[0,0,1]
	v_mov_b32_e32 v205, v5
	v_pk_fma_f32 v[4:5], v[82:83], s[26:27], v[34:35] neg_lo:[0,0,1] neg_hi:[0,0,1]
	v_mov_b32_e32 v173, v9
	;; [unrolled: 2-line block ×15, first 2 shown]
	v_pk_add_f32 v[4:5], v[74:75], v[204:205]
	v_mov_b32_e32 v199, v9
	v_pk_add_f32 v[8:9], v[74:75], v[172:173]
	v_pk_add_f32 v[4:5], v[206:207], v[4:5]
	;; [unrolled: 1-line block ×13, first 2 shown]
	v_accvgpr_read_b32 v0, a60
	v_pk_add_f32 v[4:5], v[228:229], v[4:5]
	v_pk_add_f32 v[8:9], v[198:199], v[8:9]
	v_accvgpr_read_b32 v1, a61
	ds_write2_b64 v70, v[4:5], v[8:9] offset0:12 offset1:13
	v_pk_fma_f32 v[4:5], v[72:73], s[12:13], v[0:1] neg_lo:[0,0,1] neg_hi:[0,0,1]
	v_accvgpr_read_b32 v0, a62
	v_accvgpr_read_b32 v1, a63
	v_mov_b32_e32 v243, v5
	v_pk_fma_f32 v[4:5], v[82:83], s[18:19], v[0:1] neg_lo:[0,0,1] neg_hi:[0,0,1]
	v_accvgpr_read_b32 v0, a64
	v_accvgpr_read_b32 v1, a65
	v_mov_b32_e32 v131, v5
	;; [unrolled: 4-line block ×4, first 2 shown]
	v_pk_fma_f32 v[4:5], v[100:101], s[42:43], v[0:1] neg_lo:[0,0,1] neg_hi:[0,0,1]
	v_accvgpr_read_b32 v0, a44
	v_accvgpr_read_b32 v1, a45
	v_pk_fma_f32 v[8:9], v[72:73], s[10:11], v[0:1] neg_lo:[0,0,1] neg_hi:[0,0,1]
	v_accvgpr_read_b32 v0, a46
	v_accvgpr_read_b32 v1, a47
	v_mov_b32_e32 v3, v9
	v_pk_fma_f32 v[8:9], v[82:83], s[14:15], v[0:1] neg_lo:[0,0,1] neg_hi:[0,0,1]
	v_accvgpr_read_b32 v0, a48
	v_accvgpr_read_b32 v1, a49
	v_mov_b32_e32 v7, v9
	;; [unrolled: 4-line block ×3, first 2 shown]
	v_pk_fma_f32 v[4:5], v[106:107], s[4:5], v[132:133] neg_lo:[0,0,1] neg_hi:[0,0,1]
	v_mov_b32_e32 v19, v9
	v_pk_fma_f32 v[8:9], v[94:95], s[22:23], v[0:1] neg_lo:[0,0,1] neg_hi:[0,0,1]
	v_accvgpr_read_b32 v0, a52
	v_mov_b32_e32 v153, v5
	v_pk_fma_f32 v[4:5], v[114:115], s[14:15], v[156:157] neg_lo:[0,0,1] neg_hi:[0,0,1]
	v_accvgpr_read_b32 v1, a53
	v_mov_b32_e32 v161, v5
	v_pk_fma_f32 v[4:5], v[120:121], s[20:21], v[196:197] neg_lo:[0,0,1] neg_hi:[0,0,1]
	v_mov_b32_e32 v23, v9
	v_pk_fma_f32 v[8:9], v[100:101], s[26:27], v[0:1] neg_lo:[0,0,1] neg_hi:[0,0,1]
	v_accvgpr_read_b32 v0, a54
	v_mov_b32_e32 v163, v5
	v_pk_add_f32 v[4:5], v[74:75], v[242:243]
	v_accvgpr_read_b32 v1, a55
	v_pk_add_f32 v[2:3], v[74:75], v[2:3]
	v_pk_add_f32 v[4:5], v[130:131], v[4:5]
	v_mov_b32_e32 v27, v9
	v_pk_fma_f32 v[8:9], v[106:107], s[28:29], v[0:1] neg_lo:[0,0,1] neg_hi:[0,0,1]
	v_accvgpr_read_b32 v0, a56
	v_pk_add_f32 v[2:3], v[6:7], v[2:3]
	v_pk_add_f32 v[4:5], v[146:147], v[4:5]
	v_accvgpr_read_b32 v1, a57
	v_pk_add_f32 v[2:3], v[18:19], v[2:3]
	v_pk_add_f32 v[4:5], v[170:171], v[4:5]
	v_mov_b32_e32 v39, v9
	v_pk_fma_f32 v[8:9], v[114:115], s[30:31], v[0:1] neg_lo:[0,0,1] neg_hi:[0,0,1]
	v_accvgpr_read_b32 v0, a58
	v_pk_add_f32 v[2:3], v[22:23], v[2:3]
	v_pk_add_f32 v[4:5], v[148:149], v[4:5]
	v_accvgpr_read_b32 v1, a59
	v_pk_add_f32 v[2:3], v[26:27], v[2:3]
	v_pk_add_f32 v[4:5], v[152:153], v[4:5]
	v_mov_b32_e32 v47, v9
	v_pk_fma_f32 v[8:9], v[120:121], s[34:35], v[0:1] neg_lo:[0,0,1] neg_hi:[0,0,1]
	v_pk_add_f32 v[2:3], v[38:39], v[2:3]
	v_pk_add_f32 v[4:5], v[160:161], v[4:5]
	v_mov_b32_e32 v55, v9
	v_pk_add_f32 v[2:3], v[46:47], v[2:3]
	v_accvgpr_read_b32 v0, a16
	v_pk_add_f32 v[4:5], v[162:163], v[4:5]
	v_pk_add_f32 v[2:3], v[54:55], v[2:3]
	v_accvgpr_read_b32 v1, a17
	ds_write2_b64 v70, v[4:5], v[2:3] offset0:14 offset1:15
	v_pk_fma_f32 v[2:3], v[72:73], s[4:5], v[0:1] neg_lo:[0,0,1] neg_hi:[0,0,1]
	v_accvgpr_read_b32 v0, a30
	v_accvgpr_read_b32 v1, a31
	v_pk_fma_f32 v[4:5], v[82:83], s[10:11], v[0:1] neg_lo:[0,0,1] neg_hi:[0,0,1]
	v_accvgpr_read_b32 v0, a32
	v_accvgpr_read_b32 v1, a33
	v_mov_b32_e32 v85, v5
	v_pk_fma_f32 v[4:5], v[88:89], s[12:13], v[0:1] neg_lo:[0,0,1] neg_hi:[0,0,1]
	v_accvgpr_read_b32 v0, a34
	v_accvgpr_read_b32 v1, a35
	v_mov_b32_e32 v93, v5
	;; [unrolled: 4-line block ×3, first 2 shown]
	v_mov_b32_e32 v99, v5
	v_pk_fma_f32 v[4:5], v[100:101], s[16:17], v[0:1] neg_lo:[0,0,1] neg_hi:[0,0,1]
	v_accvgpr_read_b32 v0, a38
	v_pk_add_f32 v[2:3], v[74:75], v[78:79]
	v_accvgpr_read_b32 v1, a39
	v_pk_add_f32 v[2:3], v[84:85], v[2:3]
	v_mov_b32_e32 v105, v5
	v_pk_fma_f32 v[4:5], v[106:107], s[18:19], v[0:1] neg_lo:[0,0,1] neg_hi:[0,0,1]
	v_accvgpr_read_b32 v0, a40
	v_pk_add_f32 v[2:3], v[92:93], v[2:3]
	v_accvgpr_read_b32 v1, a41
	v_pk_add_f32 v[2:3], v[98:99], v[2:3]
	;; [unrolled: 6-line block ×3, first 2 shown]
	v_mov_b32_e32 v119, v5
	v_pk_fma_f32 v[4:5], v[120:121], s[22:23], v[0:1] neg_lo:[0,0,1] neg_hi:[0,0,1]
	v_pk_add_f32 v[2:3], v[118:119], v[2:3]
	v_mov_b32_e32 v123, v5
	v_pk_add_f32 v[2:3], v[122:123], v[2:3]
	ds_write_b64 v70, v[2:3] offset:128
	s_and_saveexec_b64 s[74:75], s[0:1]
	s_cbranch_execz .LBB0_14
; %bb.13:
	v_accvgpr_read_b32 v0, a12
	v_accvgpr_read_b32 v141, a5
	;; [unrolled: 1-line block ×7, first 2 shown]
	v_pk_add_f32 v[4:5], v[140:141], v[0:1]
	v_accvgpr_read_b32 v54, a22
	v_accvgpr_read_b32 v63, a27
	v_pk_add_f32 v[4:5], v[4:5], v[34:35]
	v_accvgpr_read_b32 v62, a26
	v_pk_add_f32 v[4:5], v[4:5], v[54:55]
	;; [unrolled: 2-line block ×9, first 2 shown]
	v_pk_add_f32 v[8:9], v[0:1], v[38:39] neg_lo:[0,1] neg_hi:[0,1]
	v_pk_add_f32 v[30:31], v[38:39], v[0:1]
	v_accvgpr_read_b32 v13, a7
	v_accvgpr_read_b32 v29, a11
	;; [unrolled: 1-line block ×3, first 2 shown]
	v_pk_add_f32 v[4:5], v[4:5], v[58:59]
	v_accvgpr_read_b32 v12, a6
	v_accvgpr_read_b32 v21, a9
	;; [unrolled: 1-line block ×3, first 2 shown]
	v_mul_i32_i24_e32 v0, 0x88, v202
	v_pk_add_f32 v[4:5], v[4:5], v[42:43]
	v_mov_b32_e32 v136, v30
	v_mov_b32_e32 v137, v8
	v_pk_add_f32 v[16:17], v[34:35], v[12:13] neg_lo:[0,1] neg_hi:[0,1]
	v_pk_add_f32 v[26:27], v[12:13], v[34:35]
	v_accvgpr_read_b32 v20, a8
	v_add3_u32 v172, 0, v0, v71
	v_pk_add_f32 v[4:5], v[4:5], v[28:29]
	v_pk_mul_f32 v[0:1], v[136:137], s[24:25]
	v_pk_add_f32 v[4:5], v[4:5], v[20:21]
	v_mov_b32_e32 v30, v9
	v_accvgpr_write_b32 a5, v1
	v_mov_b32_e32 v146, v26
	v_mov_b32_e32 v147, v16
	v_pk_add_f32 v[24:25], v[54:55], v[20:21] neg_lo:[0,1] neg_hi:[0,1]
	v_pk_add_f32 v[22:23], v[20:21], v[54:55]
	v_pk_add_f32 v[4:5], v[4:5], v[12:13]
	v_pk_fma_f32 v[12:13], v[30:31], s[4:5], v[0:1] neg_lo:[1,0,0] neg_hi:[1,0,0]
	v_pk_fma_f32 v[120:121], v[30:31], s[4:5], v[0:1]
	v_accvgpr_write_b32 a4, v0
	v_pk_mul_f32 v[0:1], v[146:147], s[48:49]
	v_mov_b32_e32 v26, v17
	v_accvgpr_write_b32 a7, v1
	v_mov_b32_e32 v156, v22
	v_mov_b32_e32 v157, v24
	v_pk_add_f32 v[32:33], v[62:63], v[28:29] neg_lo:[0,1] neg_hi:[0,1]
	v_pk_add_f32 v[18:19], v[28:29], v[62:63]
	v_pk_fma_f32 v[28:29], v[26:27], s[10:11], v[0:1] neg_lo:[1,0,0] neg_hi:[1,0,0]
	v_pk_fma_f32 v[96:97], v[26:27], s[10:11], v[0:1]
	v_accvgpr_write_b32 a6, v0
	v_pk_mul_f32 v[0:1], v[156:157], s[52:53]
	v_mov_b32_e32 v22, v25
	v_accvgpr_write_b32 a9, v1
	v_mov_b32_e32 v160, v18
	v_mov_b32_e32 v161, v32
	v_pk_add_f32 v[36:37], v[44:45], v[42:43] neg_lo:[0,1] neg_hi:[0,1]
	v_pk_add_f32 v[14:15], v[42:43], v[44:45]
	v_pk_add_f32 v[46:47], v[56:57], v[66:67] neg_lo:[0,1] neg_hi:[0,1]
	v_pk_add_f32 v[6:7], v[66:67], v[56:57]
	v_pk_fma_f32 v[34:35], v[22:23], s[12:13], v[0:1] neg_lo:[1,0,0] neg_hi:[1,0,0]
	v_pk_fma_f32 v[56:57], v[22:23], s[12:13], v[0:1]
	v_accvgpr_write_b32 a8, v0
	v_pk_mul_f32 v[0:1], v[160:161], s[46:47]
	v_mov_b32_e32 v13, v121
	v_mov_b32_e32 v18, v33
	v_accvgpr_write_b32 a11, v1
	v_mov_b32_e32 v162, v14
	v_mov_b32_e32 v163, v36
	v_pk_add_f32 v[40:41], v[52:53], v[58:59] neg_lo:[0,1] neg_hi:[0,1]
	v_pk_add_f32 v[10:11], v[58:59], v[52:53]
	v_pk_add_f32 v[52:53], v[4:5], v[38:39]
	;; [unrolled: 1-line block ×3, first 2 shown]
	v_mov_b32_e32 v29, v97
	v_pk_fma_f32 v[38:39], v[18:19], s[14:15], v[0:1] neg_lo:[1,0,0] neg_hi:[1,0,0]
	v_pk_fma_f32 v[32:33], v[18:19], s[14:15], v[0:1]
	v_accvgpr_write_b32 a10, v0
	v_pk_mul_f32 v[0:1], v[162:163], s[36:37]
	v_pk_add_f32 v[28:29], v[28:29], v[20:21]
	v_mov_b32_e32 v35, v57
	v_mov_b32_e32 v14, v37
	v_accvgpr_write_b32 a13, v1
	v_mov_b32_e32 v164, v10
	v_mov_b32_e32 v165, v40
	v_pk_add_f32 v[34:35], v[34:35], v[28:29]
	v_mov_b32_e32 v39, v33
	v_pk_fma_f32 v[42:43], v[14:15], s[16:17], v[0:1] neg_lo:[1,0,0] neg_hi:[1,0,0]
	v_pk_fma_f32 v[36:37], v[14:15], s[16:17], v[0:1]
	v_accvgpr_write_b32 a12, v0
	v_pk_mul_f32 v[0:1], v[164:165], s[38:39]
	v_mov_b32_e32 v10, v41
	v_pk_add_f32 v[38:39], v[38:39], v[34:35]
	v_mov_b32_e32 v43, v37
	v_pk_fma_f32 v[44:45], v[10:11], s[18:19], v[0:1] neg_lo:[1,0,0] neg_hi:[1,0,0]
	v_pk_fma_f32 v[40:41], v[10:11], s[18:19], v[0:1]
	v_accvgpr_write_b32 a15, v1
	v_mov_b32_e32 v166, v6
	v_mov_b32_e32 v167, v46
	v_pk_add_f32 v[50:51], v[60:61], v[48:49] neg_lo:[0,1] neg_hi:[0,1]
	v_pk_add_f32 v[2:3], v[48:49], v[60:61]
	v_pk_add_f32 v[42:43], v[42:43], v[38:39]
	v_accvgpr_write_b32 a14, v0
	v_mov_b32_e32 v45, v41
	v_pk_mul_f32 v[0:1], v[166:167], s[44:45]
	v_mov_b32_e32 v6, v47
	v_pk_add_f32 v[48:49], v[44:45], v[42:43]
	v_pk_fma_f32 v[46:47], v[6:7], s[20:21], v[0:1] neg_lo:[1,0,0] neg_hi:[1,0,0]
	v_pk_fma_f32 v[44:45], v[6:7], s[20:21], v[0:1]
	v_accvgpr_write_b32 a17, v1
	v_mov_b32_e32 v168, v2
	v_mov_b32_e32 v169, v50
	v_accvgpr_write_b32 a16, v0
	v_mov_b32_e32 v47, v45
	v_pk_mul_f32 v[0:1], v[168:169], s[50:51]
	v_mov_b32_e32 v2, v51
	v_pk_add_f32 v[54:55], v[46:47], v[48:49]
	v_pk_fma_f32 v[50:51], v[2:3], s[22:23], v[0:1] neg_lo:[1,0,0] neg_hi:[1,0,0]
	v_pk_fma_f32 v[48:49], v[2:3], s[22:23], v[0:1]
	v_accvgpr_write_b32 a19, v1
	v_mov_b32_e32 v51, v49
	v_accvgpr_write_b32 a18, v0
	v_pk_add_f32 v[50:51], v[50:51], v[54:55]
	v_pk_mul_f32 v[0:1], v[136:137], s[48:49]
	ds_write2_b64 v172, v[52:53], v[50:51] offset1:1
	v_pk_fma_f32 v[54:55], v[30:31], s[10:11], v[0:1] neg_lo:[1,0,0] neg_hi:[1,0,0]
	v_pk_fma_f32 v[50:51], v[30:31], s[10:11], v[0:1]
	v_accvgpr_write_b32 a21, v1
	v_accvgpr_write_b32 a20, v0
	v_mov_b32_e32 v55, v51
	v_pk_mul_f32 v[0:1], v[146:147], s[46:47]
	v_pk_add_f32 v[58:59], v[140:141], v[54:55]
	v_pk_fma_f32 v[60:61], v[26:27], s[14:15], v[0:1] neg_lo:[1,0,0] neg_hi:[1,0,0]
	v_pk_fma_f32 v[54:55], v[26:27], s[14:15], v[0:1]
	v_accvgpr_write_b32 a23, v1
	v_accvgpr_write_b32 a22, v0
	v_mov_b32_e32 v61, v55
	v_pk_mul_f32 v[0:1], v[156:157], s[38:39]
	v_pk_add_f32 v[62:63], v[60:61], v[58:59]
	;; [unrolled: 7-line block ×6, first 2 shown]
	v_pk_fma_f32 v[88:89], v[6:7], s[30:31], v[0:1] neg_lo:[1,0,0] neg_hi:[1,0,0]
	v_pk_fma_f32 v[82:83], v[6:7], s[30:31], v[0:1]
	v_pk_mul_f32 v[84:85], v[146:147], s[38:39]
	v_mov_b32_e32 v89, v83
	v_pk_add_f32 v[90:91], v[88:89], v[86:87]
	v_pk_mul_f32 v[88:89], v[168:169], s[58:59]
	v_pk_fma_f32 v[100:101], v[26:27], s[18:19], v[84:85] neg_lo:[1,0,0] neg_hi:[1,0,0]
	v_pk_fma_f32 v[92:93], v[2:3], s[34:35], v[88:89] neg_lo:[1,0,0] neg_hi:[1,0,0]
	v_pk_fma_f32 v[86:87], v[2:3], s[34:35], v[88:89]
	v_pk_mul_f32 v[80:81], v[162:163], s[60:61]
	v_mov_b32_e32 v93, v87
	v_pk_add_f32 v[108:109], v[92:93], v[90:91]
	v_pk_mul_f32 v[92:93], v[136:137], s[52:53]
	v_pk_fma_f32 v[112:113], v[14:15], s[42:43], v[80:81] neg_lo:[1,0,0] neg_hi:[1,0,0]
	v_pk_fma_f32 v[94:95], v[30:31], s[12:13], v[92:93] neg_lo:[1,0,0] neg_hi:[1,0,0]
	v_pk_fma_f32 v[90:91], v[30:31], s[12:13], v[92:93]
	v_pk_mul_f32 v[204:205], v[166:167], s[46:47]
	v_mov_b32_e32 v95, v91
	v_pk_add_f32 v[98:99], v[140:141], v[94:95]
	v_pk_fma_f32 v[94:95], v[26:27], s[18:19], v[84:85]
	v_pk_fma_f32 v[118:119], v[6:7], s[14:15], v[204:205] neg_lo:[1,0,0] neg_hi:[1,0,0]
	v_mov_b32_e32 v101, v95
	v_pk_add_f32 v[102:103], v[100:101], v[98:99]
	v_pk_mul_f32 v[100:101], v[156:157], s[72:73]
	v_pk_mul_f32 v[76:77], v[168:169], s[44:45]
	v_pk_fma_f32 v[104:105], v[22:23], s[40:41], v[100:101] neg_lo:[1,0,0] neg_hi:[1,0,0]
	v_pk_fma_f32 v[98:99], v[22:23], s[40:41], v[100:101]
	v_pk_fma_f32 v[122:123], v[2:3], s[20:21], v[76:77] neg_lo:[1,0,0] neg_hi:[1,0,0]
	v_mov_b32_e32 v105, v99
	v_pk_add_f32 v[106:107], v[104:105], v[102:103]
	v_pk_mul_f32 v[104:105], v[160:161], s[64:65]
	v_pk_mul_f32 v[72:73], v[136:137], s[46:47]
	v_pk_fma_f32 v[110:111], v[18:19], s[28:29], v[104:105] neg_lo:[1,0,0] neg_hi:[1,0,0]
	v_pk_fma_f32 v[102:103], v[18:19], s[28:29], v[104:105]
	v_pk_mul_f32 v[60:61], v[146:147], s[50:51]
	v_mov_b32_e32 v111, v103
	v_pk_add_f32 v[110:111], v[110:111], v[106:107]
	v_pk_fma_f32 v[106:107], v[14:15], s[42:43], v[80:81]
	v_pk_fma_f32 v[126:127], v[26:27], s[22:23], v[60:61]
	v_mov_b32_e32 v113, v107
	v_pk_add_f32 v[114:115], v[112:113], v[110:111]
	v_pk_mul_f32 v[112:113], v[164:165], s[24:25]
	v_pk_mul_f32 v[52:53], v[156:157], s[64:65]
	v_pk_fma_f32 v[116:117], v[10:11], s[4:5], v[112:113] neg_lo:[1,0,0] neg_hi:[1,0,0]
	v_pk_fma_f32 v[110:111], v[10:11], s[4:5], v[112:113]
	v_pk_fma_f32 v[24:25], v[22:23], s[28:29], v[52:53]
	v_mov_b32_e32 v117, v111
	v_pk_add_f32 v[116:117], v[116:117], v[114:115]
	v_pk_fma_f32 v[114:115], v[6:7], s[14:15], v[204:205]
	v_pk_mul_f32 v[46:47], v[162:163], s[52:53]
	v_mov_b32_e32 v119, v115
	v_pk_add_f32 v[116:117], v[118:119], v[116:117]
	v_pk_fma_f32 v[118:119], v[2:3], s[20:21], v[76:77]
	v_pk_fma_f32 v[142:143], v[14:15], s[12:13], v[46:47]
	v_mov_b32_e32 v123, v119
	v_pk_add_f32 v[116:117], v[122:123], v[116:117]
	ds_write2_b64 v172, v[108:109], v[116:117] offset0:2 offset1:3
	v_pk_fma_f32 v[108:109], v[30:31], s[14:15], v[72:73] neg_lo:[1,0,0] neg_hi:[1,0,0]
	v_pk_fma_f32 v[122:123], v[30:31], s[14:15], v[72:73]
	v_pk_fma_f32 v[116:117], v[26:27], s[22:23], v[60:61] neg_lo:[1,0,0] neg_hi:[1,0,0]
	v_mov_b32_e32 v109, v123
	v_pk_add_f32 v[108:109], v[140:141], v[108:109]
	v_mov_b32_e32 v117, v127
	v_pk_add_f32 v[108:109], v[116:117], v[108:109]
	v_pk_fma_f32 v[116:117], v[22:23], s[28:29], v[52:53] neg_lo:[1,0,0] neg_hi:[1,0,0]
	v_pk_mul_f32 v[42:43], v[164:165], s[44:45]
	v_mov_b32_e32 v117, v25
	v_pk_add_f32 v[116:117], v[116:117], v[108:109]
	v_pk_mul_f32 v[108:109], v[160:161], s[58:59]
	v_pk_fma_f32 v[144:145], v[10:11], s[20:21], v[42:43]
	v_pk_fma_f32 v[138:139], v[18:19], s[34:35], v[108:109] neg_lo:[1,0,0] neg_hi:[1,0,0]
	v_pk_fma_f32 v[20:21], v[18:19], s[34:35], v[108:109]
	v_pk_mul_f32 v[38:39], v[166:167], s[70:71]
	v_mov_b32_e32 v139, v21
	v_pk_add_f32 v[116:117], v[138:139], v[116:117]
	v_pk_fma_f32 v[138:139], v[14:15], s[12:13], v[46:47] neg_lo:[1,0,0] neg_hi:[1,0,0]
	v_pk_fma_f32 v[150:151], v[6:7], s[54:55], v[38:39]
	v_mov_b32_e32 v139, v143
	v_pk_add_f32 v[116:117], v[138:139], v[116:117]
	v_pk_fma_f32 v[138:139], v[10:11], s[20:21], v[42:43] neg_lo:[1,0,0] neg_hi:[1,0,0]
	v_pk_mul_f32 v[34:35], v[136:137], s[36:37]
	v_mov_b32_e32 v139, v145
	v_pk_add_f32 v[116:117], v[138:139], v[116:117]
	v_pk_fma_f32 v[138:139], v[6:7], s[54:55], v[38:39] neg_lo:[1,0,0] neg_hi:[1,0,0]
	v_pk_fma_f32 v[8:9], v[30:31], s[16:17], v[34:35]
	v_mov_b32_e32 v139, v151
	v_pk_add_f32 v[138:139], v[138:139], v[116:117]
	v_pk_mul_f32 v[116:117], v[168:169], s[60:61]
	v_pk_mul_f32 v[180:181], v[156:157], s[60:61]
	v_pk_fma_f32 v[158:159], v[2:3], s[42:43], v[116:117] neg_lo:[1,0,0] neg_hi:[1,0,0]
	v_pk_fma_f32 v[12:13], v[2:3], s[42:43], v[116:117]
	v_pk_fma_f32 v[182:183], v[22:23], s[42:43], v[180:181] neg_lo:[1,0,0] neg_hi:[1,0,0]
	v_mov_b32_e32 v159, v13
	v_pk_add_f32 v[158:159], v[158:159], v[138:139]
	v_pk_fma_f32 v[138:139], v[30:31], s[16:17], v[34:35] neg_lo:[1,0,0] neg_hi:[1,0,0]
	v_pk_mul_f32 v[184:185], v[160:161], s[52:53]
	v_mov_b32_e32 v139, v9
	v_pk_add_f32 v[176:177], v[140:141], v[138:139]
	v_pk_mul_f32 v[138:139], v[146:147], s[66:67]
	v_pk_fma_f32 v[186:187], v[18:19], s[12:13], v[184:185] neg_lo:[1,0,0] neg_hi:[1,0,0]
	v_pk_fma_f32 v[178:179], v[26:27], s[26:27], v[138:139] neg_lo:[1,0,0] neg_hi:[1,0,0]
	v_pk_fma_f32 v[174:175], v[26:27], s[26:27], v[138:139]
	v_pk_mul_f32 v[188:189], v[162:163], s[50:51]
	v_mov_b32_e32 v179, v175
	v_pk_add_f32 v[176:177], v[178:179], v[176:177]
	v_pk_fma_f32 v[178:179], v[22:23], s[42:43], v[180:181]
	v_pk_fma_f32 v[190:191], v[14:15], s[22:23], v[188:189] neg_lo:[1,0,0] neg_hi:[1,0,0]
	v_mov_b32_e32 v183, v179
	v_pk_add_f32 v[176:177], v[182:183], v[176:177]
	v_pk_fma_f32 v[182:183], v[18:19], s[12:13], v[184:185]
	v_pk_mul_f32 v[192:193], v[164:165], s[68:69]
	v_mov_b32_e32 v187, v183
	v_pk_add_f32 v[176:177], v[186:187], v[176:177]
	v_pk_fma_f32 v[186:187], v[14:15], s[22:23], v[188:189]
	v_pk_fma_f32 v[194:195], v[10:11], s[62:63], v[192:193] neg_lo:[1,0,0] neg_hi:[1,0,0]
	v_mov_b32_e32 v191, v187
	v_pk_add_f32 v[176:177], v[190:191], v[176:177]
	v_pk_fma_f32 v[190:191], v[10:11], s[62:63], v[192:193]
	v_pk_mul_f32 v[28:29], v[166:167], s[24:25]
	v_mov_b32_e32 v195, v191
	v_pk_add_f32 v[176:177], v[194:195], v[176:177]
	v_pk_fma_f32 v[198:199], v[6:7], s[4:5], v[28:29] neg_lo:[1,0,0] neg_hi:[1,0,0]
	v_pk_fma_f32 v[194:195], v[6:7], s[4:5], v[28:29]
	v_pk_mul_f32 v[200:201], v[168:169], s[38:39]
	v_mov_b32_e32 v199, v195
	v_pk_add_f32 v[176:177], v[198:199], v[176:177]
	v_pk_fma_f32 v[206:207], v[2:3], s[18:19], v[200:201] neg_lo:[1,0,0] neg_hi:[1,0,0]
	v_pk_fma_f32 v[198:199], v[2:3], s[18:19], v[200:201]
	v_pk_mul_f32 v[208:209], v[146:147], s[64:65]
	v_mov_b32_e32 v207, v199
	v_pk_add_f32 v[176:177], v[206:207], v[176:177]
	ds_write2_b64 v172, v[158:159], v[176:177] offset0:4 offset1:5
	v_pk_mul_f32 v[158:159], v[136:137], s[38:39]
	v_pk_fma_f32 v[210:211], v[26:27], s[28:29], v[208:209] neg_lo:[1,0,0] neg_hi:[1,0,0]
	v_pk_fma_f32 v[176:177], v[30:31], s[18:19], v[158:159] neg_lo:[1,0,0] neg_hi:[1,0,0]
	v_pk_fma_f32 v[206:207], v[30:31], s[18:19], v[158:159]
	v_pk_fma_f32 v[212:213], v[26:27], s[28:29], v[208:209]
	v_mov_b32_e32 v177, v207
	v_pk_add_f32 v[176:177], v[140:141], v[176:177]
	v_mov_b32_e32 v211, v213
	v_pk_add_f32 v[176:177], v[210:211], v[176:177]
	v_pk_mul_f32 v[210:211], v[156:157], s[24:25]
	v_pk_mul_f32 v[16:17], v[146:147], s[56:57]
	v_pk_fma_f32 v[214:215], v[22:23], s[4:5], v[210:211] neg_lo:[1,0,0] neg_hi:[1,0,0]
	v_pk_fma_f32 v[216:217], v[22:23], s[4:5], v[210:211]
	v_pk_fma_f32 v[244:245], v[26:27], s[30:31], v[16:17] neg_lo:[1,0,0] neg_hi:[1,0,0]
	v_mov_b32_e32 v215, v217
	v_pk_add_f32 v[176:177], v[214:215], v[176:177]
	v_pk_mul_f32 v[214:215], v[160:161], s[44:45]
	v_pk_fma_f32 v[246:247], v[26:27], s[30:31], v[16:17]
	v_pk_fma_f32 v[218:219], v[18:19], s[20:21], v[214:215] neg_lo:[1,0,0] neg_hi:[1,0,0]
	v_pk_fma_f32 v[220:221], v[18:19], s[20:21], v[214:215]
	v_mov_b32_e32 v245, v247
	v_mov_b32_e32 v219, v221
	v_pk_add_f32 v[176:177], v[218:219], v[176:177]
	v_pk_mul_f32 v[218:219], v[162:163], s[68:69]
	v_accvgpr_write_b32 a33, v1
	v_pk_fma_f32 v[222:223], v[14:15], s[62:63], v[218:219] neg_lo:[1,0,0] neg_hi:[1,0,0]
	v_pk_fma_f32 v[224:225], v[14:15], s[62:63], v[218:219]
	v_accvgpr_write_b32 a32, v0
	v_mov_b32_e32 v223, v225
	v_pk_add_f32 v[176:177], v[222:223], v[176:177]
	v_pk_mul_f32 v[222:223], v[164:165], s[48:49]
	v_mov_b32_e32 v9, v71
	v_pk_fma_f32 v[226:227], v[10:11], s[10:11], v[222:223] neg_lo:[1,0,0] neg_hi:[1,0,0]
	v_pk_fma_f32 v[228:229], v[10:11], s[10:11], v[222:223]
	v_pk_mul_f32 v[146:147], v[146:147], s[58:59]
	v_mov_b32_e32 v227, v229
	v_pk_add_f32 v[176:177], v[226:227], v[176:177]
	v_pk_mul_f32 v[226:227], v[166:167], s[50:51]
	v_pk_fma_f32 v[132:133], v[26:27], s[34:35], v[146:147]
	v_pk_fma_f32 v[230:231], v[6:7], s[22:23], v[226:227] neg_lo:[1,0,0] neg_hi:[1,0,0]
	v_pk_fma_f32 v[232:233], v[6:7], s[22:23], v[226:227]
	v_accvgpr_write_b32 a0, v154
	v_mov_b32_e32 v231, v233
	v_pk_add_f32 v[176:177], v[230:231], v[176:177]
	v_pk_mul_f32 v[230:231], v[168:169], s[56:57]
	v_pk_fma_f32 v[16:17], v[26:27], s[30:31], v[16:17] neg_lo:[0,0,1] neg_hi:[0,0,1]
	v_pk_fma_f32 v[234:235], v[2:3], s[30:31], v[230:231] neg_lo:[1,0,0] neg_hi:[1,0,0]
	v_pk_fma_f32 v[236:237], v[2:3], s[30:31], v[230:231]
	v_mov_b32_e32 v247, v17
	v_mov_b32_e32 v235, v237
	v_pk_add_f32 v[176:177], v[234:235], v[176:177]
	v_pk_mul_f32 v[234:235], v[136:137], s[44:45]
	s_nop 0
	v_pk_fma_f32 v[238:239], v[30:31], s[20:21], v[234:235] neg_lo:[1,0,0] neg_hi:[1,0,0]
	v_pk_fma_f32 v[240:241], v[30:31], s[20:21], v[234:235]
	s_nop 0
	v_mov_b32_e32 v239, v241
	v_pk_add_f32 v[238:239], v[140:141], v[238:239]
	s_nop 0
	v_pk_add_f32 v[238:239], v[244:245], v[238:239]
	v_pk_mul_f32 v[244:245], v[156:157], s[46:47]
	v_pk_mul_f32 v[156:157], v[156:157], s[44:45]
	v_pk_fma_f32 v[248:249], v[22:23], s[14:15], v[244:245] neg_lo:[1,0,0] neg_hi:[1,0,0]
	v_pk_fma_f32 v[250:251], v[22:23], s[14:15], v[244:245]
	v_pk_fma_f32 v[170:171], v[22:23], s[20:21], v[156:157]
	v_mov_b32_e32 v249, v251
	v_pk_add_f32 v[238:239], v[248:249], v[238:239]
	v_pk_mul_f32 v[248:249], v[160:161], s[70:71]
	v_pk_mul_f32 v[160:161], v[160:161], s[60:61]
	v_pk_fma_f32 v[252:253], v[18:19], s[54:55], v[248:249] neg_lo:[1,0,0] neg_hi:[1,0,0]
	v_pk_fma_f32 v[254:255], v[18:19], s[54:55], v[248:249]
	v_pk_fma_f32 v[148:149], v[18:19], s[42:43], v[160:161]
	v_mov_b32_e32 v253, v255
	;; [unrolled: 7-line block ×3, first 2 shown]
	v_pk_add_f32 v[0:1], v[0:1], v[238:239]
	v_pk_mul_f32 v[238:239], v[164:165], s[50:51]
	v_pk_mul_f32 v[164:165], v[164:165], s[56:57]
	v_pk_fma_f32 v[70:71], v[10:11], s[22:23], v[238:239] neg_lo:[1,0,0] neg_hi:[1,0,0]
	v_pk_fma_f32 v[66:67], v[10:11], s[22:23], v[238:239]
	v_mov_b32_e32 v5, v155
	v_mov_b32_e32 v71, v67
	v_pk_add_f32 v[0:1], v[70:71], v[0:1]
	v_pk_mul_f32 v[70:71], v[166:167], s[60:61]
	v_pk_fma_f32 v[154:155], v[10:11], s[30:31], v[164:165]
	v_pk_fma_f32 v[196:197], v[6:7], s[42:43], v[70:71] neg_lo:[1,0,0] neg_hi:[1,0,0]
	v_pk_fma_f32 v[134:135], v[6:7], s[42:43], v[70:71]
	v_pk_mul_f32 v[166:167], v[166:167], s[36:37]
	v_mov_b32_e32 v197, v135
	v_pk_add_f32 v[0:1], v[196:197], v[0:1]
	v_pk_mul_f32 v[196:197], v[168:169], s[36:37]
	v_pk_fma_f32 v[124:125], v[6:7], s[16:17], v[166:167]
	v_pk_fma_f32 v[242:243], v[2:3], s[16:17], v[196:197] neg_lo:[1,0,0] neg_hi:[1,0,0]
	v_pk_fma_f32 v[130:131], v[2:3], s[16:17], v[196:197]
	v_pk_mul_f32 v[168:169], v[168:169], s[68:69]
	v_mov_b32_e32 v243, v131
	v_pk_add_f32 v[0:1], v[242:243], v[0:1]
	ds_write2_b64 v172, v[176:177], v[0:1] offset0:6 offset1:7
	v_pk_mul_f32 v[0:1], v[136:137], s[50:51]
	v_pk_fma_f32 v[242:243], v[26:27], s[34:35], v[146:147] neg_lo:[1,0,0] neg_hi:[1,0,0]
	v_pk_fma_f32 v[136:137], v[30:31], s[22:23], v[0:1] neg_lo:[1,0,0] neg_hi:[1,0,0]
	v_pk_fma_f32 v[176:177], v[30:31], s[22:23], v[0:1]
	v_mov_b32_e32 v243, v133
	v_mov_b32_e32 v137, v177
	v_pk_add_f32 v[136:137], v[140:141], v[136:137]
	v_pk_fma_f32 v[0:1], v[30:31], s[22:23], v[0:1] neg_lo:[0,0,1] neg_hi:[0,0,1]
	v_pk_add_f32 v[136:137], v[242:243], v[136:137]
	v_pk_fma_f32 v[242:243], v[22:23], s[20:21], v[156:157] neg_lo:[1,0,0] neg_hi:[1,0,0]
	v_mov_b32_e32 v177, v1
	v_mov_b32_e32 v243, v171
	v_pk_add_f32 v[136:137], v[242:243], v[136:137]
	v_pk_fma_f32 v[242:243], v[18:19], s[42:43], v[160:161] neg_lo:[1,0,0] neg_hi:[1,0,0]
	v_pk_fma_f32 v[0:1], v[26:27], s[34:35], v[146:147] neg_lo:[0,0,1] neg_hi:[0,0,1]
	v_mov_b32_e32 v243, v149
	v_mov_b32_e32 v133, v1
	v_pk_add_f32 v[0:1], v[140:141], v[176:177]
	v_pk_add_f32 v[136:137], v[242:243], v[136:137]
	v_pk_fma_f32 v[242:243], v[14:15], s[18:19], v[162:163] neg_lo:[1,0,0] neg_hi:[1,0,0]
	v_pk_add_f32 v[0:1], v[132:133], v[0:1]
	v_pk_fma_f32 v[132:133], v[22:23], s[20:21], v[156:157] neg_lo:[0,0,1] neg_hi:[0,0,1]
	v_mov_b32_e32 v243, v153
	v_mov_b32_e32 v171, v133
	v_pk_fma_f32 v[132:133], v[18:19], s[42:43], v[160:161] neg_lo:[0,0,1] neg_hi:[0,0,1]
	v_pk_add_f32 v[136:137], v[242:243], v[136:137]
	v_pk_fma_f32 v[242:243], v[10:11], s[30:31], v[164:165] neg_lo:[1,0,0] neg_hi:[1,0,0]
	v_pk_add_f32 v[0:1], v[170:171], v[0:1]
	v_mov_b32_e32 v149, v133
	v_pk_fma_f32 v[132:133], v[14:15], s[18:19], v[162:163] neg_lo:[0,0,1] neg_hi:[0,0,1]
	v_mov_b32_e32 v243, v155
	v_pk_add_f32 v[0:1], v[148:149], v[0:1]
	v_mov_b32_e32 v153, v133
	v_pk_fma_f32 v[132:133], v[10:11], s[30:31], v[164:165] neg_lo:[0,0,1] neg_hi:[0,0,1]
	v_pk_add_f32 v[136:137], v[242:243], v[136:137]
	v_pk_fma_f32 v[242:243], v[6:7], s[16:17], v[166:167] neg_lo:[1,0,0] neg_hi:[1,0,0]
	v_pk_add_f32 v[0:1], v[152:153], v[0:1]
	v_mov_b32_e32 v155, v133
	v_pk_fma_f32 v[132:133], v[6:7], s[16:17], v[166:167] neg_lo:[0,0,1] neg_hi:[0,0,1]
	v_mov_b32_e32 v243, v125
	v_pk_add_f32 v[0:1], v[154:155], v[0:1]
	v_mov_b32_e32 v125, v133
	v_pk_add_f32 v[136:137], v[242:243], v[136:137]
	v_pk_fma_f32 v[242:243], v[2:3], s[62:63], v[168:169] neg_lo:[1,0,0] neg_hi:[1,0,0]
	v_pk_fma_f32 v[128:129], v[2:3], s[62:63], v[168:169]
	v_pk_add_f32 v[0:1], v[124:125], v[0:1]
	v_pk_fma_f32 v[124:125], v[2:3], s[62:63], v[168:169] neg_lo:[0,0,1] neg_hi:[0,0,1]
	v_mov_b32_e32 v243, v129
	v_mov_b32_e32 v129, v125
	v_pk_add_f32 v[136:137], v[242:243], v[136:137]
	v_pk_add_f32 v[0:1], v[128:129], v[0:1]
	ds_write2_b64 v172, v[136:137], v[0:1] offset0:8 offset1:9
	v_pk_fma_f32 v[0:1], v[30:31], s[20:21], v[234:235] neg_lo:[0,0,1] neg_hi:[0,0,1]
	v_pk_fma_f32 v[16:17], v[22:23], s[14:15], v[244:245] neg_lo:[0,0,1] neg_hi:[0,0,1]
	v_mov_b32_e32 v241, v1
	v_pk_add_f32 v[0:1], v[140:141], v[240:241]
	v_mov_b32_e32 v251, v17
	v_pk_add_f32 v[0:1], v[246:247], v[0:1]
	v_pk_fma_f32 v[16:17], v[18:19], s[54:55], v[248:249] neg_lo:[0,0,1] neg_hi:[0,0,1]
	v_pk_add_f32 v[0:1], v[250:251], v[0:1]
	v_mov_b32_e32 v255, v17
	v_pk_fma_f32 v[16:17], v[14:15], s[4:5], v[252:253] neg_lo:[0,0,1] neg_hi:[0,0,1]
	v_mov_b32_e32 v155, v5
	v_pk_add_f32 v[0:1], v[254:255], v[0:1]
	v_mov_b32_e32 v5, v17
	v_pk_add_f32 v[0:1], v[4:5], v[0:1]
	v_pk_fma_f32 v[4:5], v[10:11], s[22:23], v[238:239] neg_lo:[0,0,1] neg_hi:[0,0,1]
	v_pk_fma_f32 v[16:17], v[26:27], s[28:29], v[208:209] neg_lo:[0,0,1] neg_hi:[0,0,1]
	v_mov_b32_e32 v67, v5
	v_pk_fma_f32 v[4:5], v[6:7], s[42:43], v[70:71] neg_lo:[0,0,1] neg_hi:[0,0,1]
	v_mov_b32_e32 v213, v17
	v_mov_b32_e32 v135, v5
	v_pk_fma_f32 v[4:5], v[2:3], s[16:17], v[196:197] neg_lo:[0,0,1] neg_hi:[0,0,1]
	v_pk_fma_f32 v[16:17], v[22:23], s[4:5], v[210:211] neg_lo:[0,0,1] neg_hi:[0,0,1]
	v_mov_b32_e32 v131, v5
	v_pk_fma_f32 v[4:5], v[30:31], s[18:19], v[158:159] neg_lo:[0,0,1] neg_hi:[0,0,1]
	v_mov_b32_e32 v217, v17
	v_mov_b32_e32 v207, v5
	v_pk_add_f32 v[4:5], v[140:141], v[206:207]
	v_pk_fma_f32 v[16:17], v[18:19], s[20:21], v[214:215] neg_lo:[0,0,1] neg_hi:[0,0,1]
	v_pk_add_f32 v[4:5], v[212:213], v[4:5]
	v_mov_b32_e32 v221, v17
	v_pk_add_f32 v[4:5], v[216:217], v[4:5]
	v_pk_fma_f32 v[16:17], v[14:15], s[62:63], v[218:219] neg_lo:[0,0,1] neg_hi:[0,0,1]
	v_pk_add_f32 v[4:5], v[220:221], v[4:5]
	v_mov_b32_e32 v225, v17
	v_pk_fma_f32 v[16:17], v[10:11], s[10:11], v[222:223] neg_lo:[0,0,1] neg_hi:[0,0,1]
	v_pk_add_f32 v[4:5], v[224:225], v[4:5]
	v_mov_b32_e32 v229, v17
	v_pk_fma_f32 v[16:17], v[6:7], s[22:23], v[226:227] neg_lo:[0,0,1] neg_hi:[0,0,1]
	v_pk_add_f32 v[0:1], v[66:67], v[0:1]
	v_pk_add_f32 v[4:5], v[228:229], v[4:5]
	v_mov_b32_e32 v233, v17
	v_pk_fma_f32 v[16:17], v[2:3], s[30:31], v[230:231] neg_lo:[0,0,1] neg_hi:[0,0,1]
	v_pk_add_f32 v[0:1], v[134:135], v[0:1]
	v_pk_add_f32 v[4:5], v[232:233], v[4:5]
	v_mov_b32_e32 v237, v17
	v_pk_add_f32 v[0:1], v[130:131], v[0:1]
	v_pk_add_f32 v[4:5], v[236:237], v[4:5]
	ds_write2_b64 v172, v[0:1], v[4:5] offset0:10 offset1:11
	v_pk_fma_f32 v[4:5], v[26:27], s[26:27], v[138:139] neg_lo:[0,0,1] neg_hi:[0,0,1]
	v_pk_fma_f32 v[0:1], v[30:31], s[16:17], v[34:35] neg_lo:[0,0,1] neg_hi:[0,0,1]
	v_mov_b32_e32 v175, v5
	v_pk_fma_f32 v[4:5], v[22:23], s[42:43], v[180:181] neg_lo:[0,0,1] neg_hi:[0,0,1]
	v_mov_b32_e32 v71, v9
	v_mov_b32_e32 v179, v5
	v_pk_fma_f32 v[4:5], v[18:19], s[12:13], v[184:185] neg_lo:[0,0,1] neg_hi:[0,0,1]
	v_mov_b32_e32 v9, v1
	v_mov_b32_e32 v183, v5
	v_pk_fma_f32 v[4:5], v[14:15], s[22:23], v[188:189] neg_lo:[0,0,1] neg_hi:[0,0,1]
	v_pk_add_f32 v[0:1], v[140:141], v[8:9]
	v_mov_b32_e32 v187, v5
	v_pk_fma_f32 v[4:5], v[10:11], s[62:63], v[192:193] neg_lo:[0,0,1] neg_hi:[0,0,1]
	v_pk_fma_f32 v[8:9], v[26:27], s[22:23], v[60:61] neg_lo:[0,0,1] neg_hi:[0,0,1]
	v_mov_b32_e32 v191, v5
	v_pk_fma_f32 v[4:5], v[6:7], s[4:5], v[28:29] neg_lo:[0,0,1] neg_hi:[0,0,1]
	v_mov_b32_e32 v127, v9
	v_mov_b32_e32 v195, v5
	v_pk_fma_f32 v[4:5], v[2:3], s[18:19], v[200:201] neg_lo:[0,0,1] neg_hi:[0,0,1]
	v_pk_fma_f32 v[8:9], v[22:23], s[28:29], v[52:53] neg_lo:[0,0,1] neg_hi:[0,0,1]
	v_mov_b32_e32 v199, v5
	v_pk_fma_f32 v[4:5], v[30:31], s[14:15], v[72:73] neg_lo:[0,0,1] neg_hi:[0,0,1]
	v_pk_add_f32 v[0:1], v[174:175], v[0:1]
	v_mov_b32_e32 v123, v5
	v_pk_add_f32 v[4:5], v[140:141], v[122:123]
	v_mov_b32_e32 v25, v9
	v_pk_add_f32 v[4:5], v[126:127], v[4:5]
	v_pk_fma_f32 v[8:9], v[18:19], s[34:35], v[108:109] neg_lo:[0,0,1] neg_hi:[0,0,1]
	v_pk_add_f32 v[0:1], v[178:179], v[0:1]
	v_pk_add_f32 v[4:5], v[24:25], v[4:5]
	v_mov_b32_e32 v21, v9
	v_pk_fma_f32 v[8:9], v[14:15], s[12:13], v[46:47] neg_lo:[0,0,1] neg_hi:[0,0,1]
	v_pk_add_f32 v[0:1], v[182:183], v[0:1]
	v_pk_add_f32 v[4:5], v[20:21], v[4:5]
	v_mov_b32_e32 v143, v9
	;; [unrolled: 4-line block ×5, first 2 shown]
	v_accvgpr_read_b32 v8, a22
	v_pk_add_f32 v[0:1], v[198:199], v[0:1]
	v_pk_add_f32 v[4:5], v[12:13], v[4:5]
	v_accvgpr_read_b32 v9, a23
	ds_write2_b64 v172, v[0:1], v[4:5] offset0:12 offset1:13
	v_pk_fma_f32 v[4:5], v[26:27], s[18:19], v[84:85] neg_lo:[0,0,1] neg_hi:[0,0,1]
	v_pk_fma_f32 v[8:9], v[26:27], s[14:15], v[8:9] neg_lo:[0,0,1] neg_hi:[0,0,1]
	v_mov_b32_e32 v95, v5
	v_pk_fma_f32 v[4:5], v[22:23], s[40:41], v[100:101] neg_lo:[0,0,1] neg_hi:[0,0,1]
	v_mov_b32_e32 v55, v9
	v_accvgpr_read_b32 v8, a24
	v_mov_b32_e32 v99, v5
	v_pk_fma_f32 v[4:5], v[18:19], s[28:29], v[104:105] neg_lo:[0,0,1] neg_hi:[0,0,1]
	v_accvgpr_read_b32 v9, a25
	v_mov_b32_e32 v103, v5
	v_pk_fma_f32 v[4:5], v[14:15], s[42:43], v[80:81] neg_lo:[0,0,1] neg_hi:[0,0,1]
	v_pk_fma_f32 v[8:9], v[22:23], s[18:19], v[8:9] neg_lo:[0,0,1] neg_hi:[0,0,1]
	v_mov_b32_e32 v107, v5
	v_pk_fma_f32 v[4:5], v[10:11], s[4:5], v[112:113] neg_lo:[0,0,1] neg_hi:[0,0,1]
	v_mov_b32_e32 v59, v9
	v_accvgpr_read_b32 v8, a26
	v_mov_b32_e32 v111, v5
	v_pk_fma_f32 v[4:5], v[6:7], s[14:15], v[204:205] neg_lo:[0,0,1] neg_hi:[0,0,1]
	v_accvgpr_read_b32 v9, a27
	v_mov_b32_e32 v115, v5
	v_pk_fma_f32 v[4:5], v[2:3], s[20:21], v[76:77] neg_lo:[0,0,1] neg_hi:[0,0,1]
	v_pk_fma_f32 v[8:9], v[18:19], s[22:23], v[8:9] neg_lo:[0,0,1] neg_hi:[0,0,1]
	v_mov_b32_e32 v119, v5
	v_accvgpr_read_b32 v4, a20
	v_mov_b32_e32 v63, v9
	v_accvgpr_read_b32 v8, a28
	v_accvgpr_read_b32 v5, a21
	;; [unrolled: 1-line block ×3, first 2 shown]
	v_pk_fma_f32 v[0:1], v[30:31], s[12:13], v[92:93] neg_lo:[0,0,1] neg_hi:[0,0,1]
	v_pk_fma_f32 v[4:5], v[30:31], s[10:11], v[4:5] neg_lo:[0,0,1] neg_hi:[0,0,1]
	;; [unrolled: 1-line block ×3, first 2 shown]
	v_mov_b32_e32 v91, v1
	v_mov_b32_e32 v51, v5
	;; [unrolled: 1-line block ×3, first 2 shown]
	v_accvgpr_read_b32 v8, a30
	v_pk_add_f32 v[0:1], v[140:141], v[90:91]
	v_pk_add_f32 v[4:5], v[140:141], v[50:51]
	v_accvgpr_read_b32 v9, a31
	v_pk_add_f32 v[0:1], v[94:95], v[0:1]
	v_pk_add_f32 v[4:5], v[54:55], v[4:5]
	v_pk_fma_f32 v[8:9], v[10:11], s[28:29], v[8:9] neg_lo:[0,0,1] neg_hi:[0,0,1]
	v_pk_add_f32 v[0:1], v[98:99], v[0:1]
	v_pk_add_f32 v[4:5], v[58:59], v[4:5]
	v_mov_b32_e32 v79, v9
	v_accvgpr_read_b32 v8, a32
	v_pk_add_f32 v[0:1], v[102:103], v[0:1]
	v_pk_add_f32 v[4:5], v[62:63], v[4:5]
	v_accvgpr_read_b32 v9, a33
	v_pk_add_f32 v[0:1], v[106:107], v[0:1]
	v_pk_add_f32 v[4:5], v[74:75], v[4:5]
	v_pk_fma_f32 v[8:9], v[6:7], s[30:31], v[8:9] neg_lo:[0,0,1] neg_hi:[0,0,1]
	v_pk_add_f32 v[0:1], v[110:111], v[0:1]
	v_pk_add_f32 v[4:5], v[78:79], v[4:5]
	v_mov_b32_e32 v83, v9
	v_pk_fma_f32 v[8:9], v[2:3], s[34:35], v[88:89] neg_lo:[0,0,1] neg_hi:[0,0,1]
	v_pk_add_f32 v[0:1], v[114:115], v[0:1]
	v_pk_add_f32 v[4:5], v[82:83], v[4:5]
	v_mov_b32_e32 v87, v9
	v_pk_add_f32 v[0:1], v[118:119], v[0:1]
	v_pk_add_f32 v[4:5], v[86:87], v[4:5]
	ds_write2_b64 v172, v[0:1], v[4:5] offset0:14 offset1:15
	v_accvgpr_read_b32 v4, a6
	v_accvgpr_read_b32 v5, a7
	v_pk_fma_f32 v[4:5], v[26:27], s[10:11], v[4:5] neg_lo:[0,0,1] neg_hi:[0,0,1]
	v_accvgpr_read_b32 v0, a4
	v_mov_b32_e32 v97, v5
	v_accvgpr_read_b32 v4, a8
	v_accvgpr_read_b32 v5, a9
	v_pk_fma_f32 v[4:5], v[22:23], s[12:13], v[4:5] neg_lo:[0,0,1] neg_hi:[0,0,1]
	v_accvgpr_read_b32 v1, a5
	v_mov_b32_e32 v57, v5
	v_accvgpr_read_b32 v4, a10
	v_accvgpr_read_b32 v5, a11
	v_pk_fma_f32 v[4:5], v[18:19], s[14:15], v[4:5] neg_lo:[0,0,1] neg_hi:[0,0,1]
	v_pk_fma_f32 v[0:1], v[30:31], s[4:5], v[0:1] neg_lo:[0,0,1] neg_hi:[0,0,1]
	v_mov_b32_e32 v33, v5
	v_accvgpr_read_b32 v4, a12
	v_accvgpr_read_b32 v5, a13
	v_pk_fma_f32 v[4:5], v[14:15], s[16:17], v[4:5] neg_lo:[0,0,1] neg_hi:[0,0,1]
	v_mov_b32_e32 v121, v1
	v_mov_b32_e32 v37, v5
	v_accvgpr_read_b32 v4, a14
	v_accvgpr_read_b32 v5, a15
	v_pk_fma_f32 v[4:5], v[10:11], s[18:19], v[4:5] neg_lo:[0,0,1] neg_hi:[0,0,1]
	v_pk_add_f32 v[0:1], v[140:141], v[120:121]
	v_mov_b32_e32 v41, v5
	v_accvgpr_read_b32 v4, a16
	v_pk_add_f32 v[0:1], v[96:97], v[0:1]
	v_accvgpr_read_b32 v5, a17
	v_pk_add_f32 v[0:1], v[56:57], v[0:1]
	v_pk_fma_f32 v[4:5], v[6:7], s[20:21], v[4:5] neg_lo:[0,0,1] neg_hi:[0,0,1]
	v_pk_add_f32 v[0:1], v[32:33], v[0:1]
	v_mov_b32_e32 v45, v5
	v_accvgpr_read_b32 v4, a18
	v_pk_add_f32 v[0:1], v[36:37], v[0:1]
	v_accvgpr_read_b32 v5, a19
	v_pk_add_f32 v[0:1], v[40:41], v[0:1]
	v_pk_fma_f32 v[2:3], v[2:3], s[22:23], v[4:5] neg_lo:[0,0,1] neg_hi:[0,0,1]
	v_pk_add_f32 v[0:1], v[44:45], v[0:1]
	v_mov_b32_e32 v49, v3
	v_accvgpr_read_b32 v154, a0
	v_pk_add_f32 v[0:1], v[48:49], v[0:1]
	ds_write_b64 v172, v[0:1] offset:128
.LBB0_14:
	s_or_b64 exec, exec, s[74:75]
	v_lshlrev_b32_e32 v24, 1, v154
	v_mov_b32_e32 v25, 0
	v_lshl_add_u64 v[0:1], v[24:25], 3, s[8:9]
	s_waitcnt lgkmcnt(0)
	; wave barrier
	s_waitcnt lgkmcnt(0)
	global_load_dwordx4 v[0:3], v[0:1], off
	v_lshlrev_b32_e32 v12, 3, v202
	s_movk_i32 s1, 0xf1
	v_add_u16_e32 v13, 0x77, v154
	v_add3_u32 v28, 0, v12, v71
	v_mul_lo_u16_sdwa v12, v13, s1 dst_sel:DWORD dst_unused:UNUSED_PAD src0_sel:BYTE_0 src1_sel:DWORD
	v_lshrrev_b16_e32 v12, 12, v12
	v_mul_lo_u16_e32 v12, 17, v12
	v_mov_b32_e32 v29, 4
	v_sub_u16_e32 v52, v13, v12
	v_lshlrev_b32_sdwa v12, v29, v52 dst_sel:DWORD dst_unused:UNUSED_PAD src0_sel:DWORD src1_sel:BYTE_0
	global_load_dwordx4 v[12:15], v12, s[8:9]
	v_add_u16_e32 v16, 0x55, v154
	v_add_u16_e32 v17, 0x66, v154
	v_mul_lo_u16_sdwa v18, v16, s1 dst_sel:DWORD dst_unused:UNUSED_PAD src0_sel:BYTE_0 src1_sel:DWORD
	v_mul_lo_u16_sdwa v19, v17, s1 dst_sel:DWORD dst_unused:UNUSED_PAD src0_sel:BYTE_0 src1_sel:DWORD
	v_lshrrev_b16_e32 v18, 12, v18
	v_lshrrev_b16_e32 v19, 12, v19
	v_mul_lo_u16_e32 v18, 17, v18
	v_mul_lo_u16_e32 v19, 17, v19
	v_sub_u16_e32 v53, v16, v18
	v_accvgpr_read_b32 v84, a3
	v_sub_u16_e32 v54, v17, v19
	v_lshlrev_b32_sdwa v27, v29, v53 dst_sel:DWORD dst_unused:UNUSED_PAD src0_sel:DWORD src1_sel:BYTE_0
	ds_read2_b64 v[4:7], v203 offset0:136 offset1:153
	ds_read2_b64 v[8:11], v84 offset0:16 offset1:33
	v_lshlrev_b32_sdwa v32, v29, v54 dst_sel:DWORD dst_unused:UNUSED_PAD src0_sel:DWORD src1_sel:BYTE_0
	global_load_dwordx4 v[16:19], v27, s[8:9]
	global_load_dwordx4 v[20:23], v32, s[8:9]
	v_add_u16_e32 v24, 34, v154
	v_add_u16_e32 v30, 51, v154
	v_add_u16_e32 v31, 0x44, v154
	v_mul_lo_u16_sdwa v26, v24, s1 dst_sel:DWORD dst_unused:UNUSED_PAD src0_sel:BYTE_0 src1_sel:DWORD
	v_mul_lo_u16_sdwa v27, v30, s1 dst_sel:DWORD dst_unused:UNUSED_PAD src0_sel:BYTE_0 src1_sel:DWORD
	;; [unrolled: 1-line block ×3, first 2 shown]
	v_lshrrev_b16_e32 v33, 12, v26
	v_lshrrev_b16_e32 v34, 12, v27
	;; [unrolled: 1-line block ×3, first 2 shown]
	v_mul_lo_u16_e32 v33, 17, v33
	v_mul_lo_u16_e32 v34, 17, v34
	v_mul_lo_u16_e32 v32, 17, v32
	v_sub_u16_e32 v55, v24, v33
	v_accvgpr_read_b32 v88, a2
	v_sub_u16_e32 v56, v30, v34
	v_sub_u16_e32 v57, v31, v32
	v_lshlrev_b32_sdwa v24, v29, v55 dst_sel:DWORD dst_unused:UNUSED_PAD src0_sel:DWORD src1_sel:BYTE_0
	ds_read_b64 v[26:27], v88
	ds_read_b64 v[42:43], v28
	v_lshlrev_b32_sdwa v44, v29, v56 dst_sel:DWORD dst_unused:UNUSED_PAD src0_sel:DWORD src1_sel:BYTE_0
	v_lshlrev_b32_sdwa v29, v29, v57 dst_sel:DWORD dst_unused:UNUSED_PAD src0_sel:DWORD src1_sel:BYTE_0
	global_load_dwordx4 v[30:33], v24, s[8:9]
	global_load_dwordx4 v[34:37], v44, s[8:9]
	;; [unrolled: 1-line block ×3, first 2 shown]
	s_mov_b32 s0, 0x3f5db3d7
	s_waitcnt vmcnt(6) lgkmcnt(3)
	v_pk_mul_f32 v[44:45], v[4:5], v[0:1] op_sel:[0,1]
	v_mov_b32_e32 v24, v3
	v_pk_mul_f32 v[46:47], v[6:7], v[0:1] op_sel:[0,1]
	v_pk_fma_f32 v[48:49], v[4:5], v[0:1], v[44:45] op_sel:[0,0,1] op_sel_hi:[1,1,0] neg_lo:[0,0,1] neg_hi:[0,0,1]
	v_pk_fma_f32 v[4:5], v[4:5], v[0:1], v[44:45] op_sel:[0,0,1] op_sel_hi:[1,0,0]
	s_waitcnt lgkmcnt(2)
	v_pk_mul_f32 v[44:45], v[8:9], v[24:25] op_sel_hi:[1,0]
	v_pk_fma_f32 v[50:51], v[6:7], v[0:1], v[46:47] op_sel:[0,0,1] op_sel_hi:[1,1,0] neg_lo:[0,0,1] neg_hi:[0,0,1]
	v_pk_fma_f32 v[0:1], v[6:7], v[0:1], v[46:47] op_sel:[0,0,1] op_sel_hi:[1,0,0]
	v_pk_mul_f32 v[6:7], v[10:11], v[24:25] op_sel_hi:[1,0]
	v_mov_b32_e32 v49, v5
	v_pk_fma_f32 v[4:5], v[8:9], v[2:3], v[44:45] op_sel:[0,0,1] op_sel_hi:[1,1,0] neg_lo:[0,0,1] neg_hi:[0,0,1]
	v_pk_fma_f32 v[8:9], v[8:9], v[2:3], v[44:45] op_sel:[0,0,1] op_sel_hi:[1,0,0]
	v_mov_b32_e32 v51, v1
	v_pk_fma_f32 v[0:1], v[10:11], v[2:3], v[6:7] op_sel:[0,0,1] op_sel_hi:[1,1,0] neg_lo:[0,0,1] neg_hi:[0,0,1]
	v_pk_fma_f32 v[2:3], v[10:11], v[2:3], v[6:7] op_sel:[0,0,1] op_sel_hi:[1,0,0]
	v_mov_b32_e32 v5, v9
	s_waitcnt lgkmcnt(1)
	v_pk_add_f32 v[6:7], v[26:27], v[48:49]
	v_mov_b32_e32 v1, v3
	s_waitcnt lgkmcnt(0)
	v_pk_add_f32 v[2:3], v[42:43], v[50:51]
	v_pk_add_f32 v[44:45], v[6:7], v[4:5]
	;; [unrolled: 1-line block ×3, first 2 shown]
	v_pk_add_f32 v[4:5], v[48:49], v[4:5] neg_lo:[0,1] neg_hi:[0,1]
	v_pk_add_f32 v[46:47], v[2:3], v[0:1]
	v_pk_add_f32 v[2:3], v[50:51], v[0:1]
	v_pk_add_f32 v[0:1], v[50:51], v[0:1] neg_lo:[0,1] neg_hi:[0,1]
	v_pk_fma_f32 v[6:7], v[6:7], 0.5, v[26:27] op_sel_hi:[1,0,1] neg_lo:[1,0,0] neg_hi:[1,0,0]
	v_pk_mul_f32 v[4:5], v[4:5], s[0:1] op_sel_hi:[1,0]
	v_pk_fma_f32 v[2:3], v[2:3], 0.5, v[42:43] op_sel_hi:[1,0,1] neg_lo:[1,0,0] neg_hi:[1,0,0]
	v_pk_mul_f32 v[0:1], v[0:1], s[0:1] op_sel_hi:[1,0]
	v_pk_add_f32 v[26:27], v[6:7], v[4:5] op_sel:[0,1] op_sel_hi:[1,0]
	v_pk_add_f32 v[42:43], v[6:7], v[4:5] op_sel:[0,1] op_sel_hi:[1,0] neg_lo:[0,1] neg_hi:[0,1]
	v_mov_b32_e32 v4, 3
	v_pk_add_f32 v[48:49], v[2:3], v[0:1] op_sel:[0,1] op_sel_hi:[1,0]
	v_pk_add_f32 v[50:51], v[2:3], v[0:1] op_sel:[0,1] op_sel_hi:[1,0] neg_lo:[0,1] neg_hi:[0,1]
	v_lshlrev_b32_sdwa v0, v4, v55 dst_sel:DWORD dst_unused:UNUSED_PAD src0_sel:DWORD src1_sel:BYTE_0
	v_add3_u32 v24, 0, v0, v71
	v_lshlrev_b32_sdwa v0, v4, v56 dst_sel:DWORD dst_unused:UNUSED_PAD src0_sel:DWORD src1_sel:BYTE_0
	v_add3_u32 v29, 0, v0, v71
	v_lshlrev_b32_sdwa v0, v4, v57 dst_sel:DWORD dst_unused:UNUSED_PAD src0_sel:DWORD src1_sel:BYTE_0
	v_add3_u32 v76, 0, v0, v71
	v_lshlrev_b32_sdwa v0, v4, v53 dst_sel:DWORD dst_unused:UNUSED_PAD src0_sel:DWORD src1_sel:BYTE_0
	v_add3_u32 v77, 0, v0, v71
	v_lshlrev_b32_sdwa v0, v4, v54 dst_sel:DWORD dst_unused:UNUSED_PAD src0_sel:DWORD src1_sel:BYTE_0
	v_add3_u32 v78, 0, v0, v71
	ds_read2_b64 v[0:3], v203 offset0:238 offset1:255
	v_lshlrev_b32_sdwa v4, v4, v52 dst_sel:DWORD dst_unused:UNUSED_PAD src0_sel:DWORD src1_sel:BYTE_0
	v_add3_u32 v79, 0, v4, v71
	ds_read2_b64 v[4:7], v203 offset0:102 offset1:119
	ds_read2_b64 v[8:11], v84 offset0:118 offset1:135
	s_waitcnt vmcnt(5) lgkmcnt(2)
	v_pk_mul_f32 v[52:53], v[2:3], v[12:13] op_sel:[0,1]
	s_nop 0
	v_pk_fma_f32 v[54:55], v[2:3], v[12:13], v[52:53] op_sel:[0,0,1] op_sel_hi:[1,1,0] neg_lo:[0,0,1] neg_hi:[0,0,1]
	v_pk_fma_f32 v[2:3], v[2:3], v[12:13], v[52:53] op_sel:[0,0,1] op_sel_hi:[1,0,0]
	s_nop 0
	v_mov_b32_e32 v2, v15
	v_mov_b32_e32 v55, v3
	s_waitcnt lgkmcnt(0)
	v_pk_mul_f32 v[2:3], v[10:11], v[2:3] op_sel_hi:[1,0]
	s_nop 0
	v_pk_fma_f32 v[52:53], v[10:11], v[14:15], v[2:3] op_sel:[0,0,1] op_sel_hi:[1,1,0] neg_lo:[0,0,1] neg_hi:[0,0,1]
	v_pk_fma_f32 v[2:3], v[10:11], v[14:15], v[2:3] op_sel:[0,0,1] op_sel_hi:[1,0,0]
	s_nop 0
	v_mov_b32_e32 v53, v3
	v_pk_add_f32 v[2:3], v[6:7], v[54:55]
	s_nop 0
	v_pk_add_f32 v[56:57], v[2:3], v[52:53]
	s_waitcnt vmcnt(3)
	v_pk_mul_f32 v[2:3], v[0:1], v[20:21] op_sel:[0,1]
	s_nop 0
	v_pk_fma_f32 v[58:59], v[0:1], v[20:21], v[2:3] op_sel:[0,0,1] op_sel_hi:[1,1,0] neg_lo:[0,0,1] neg_hi:[0,0,1]
	v_pk_fma_f32 v[0:1], v[0:1], v[20:21], v[2:3] op_sel:[0,0,1] op_sel_hi:[1,0,0]
	s_nop 0
	v_mov_b32_e32 v0, v23
	v_mov_b32_e32 v59, v1
	v_pk_mul_f32 v[0:1], v[8:9], v[0:1] op_sel_hi:[1,0]
	s_nop 0
	v_pk_fma_f32 v[20:21], v[8:9], v[22:23], v[0:1] op_sel:[0,0,1] op_sel_hi:[1,1,0] neg_lo:[0,0,1] neg_hi:[0,0,1]
	v_pk_fma_f32 v[0:1], v[8:9], v[22:23], v[0:1] op_sel:[0,0,1] op_sel_hi:[1,0,0]
	v_pk_add_f32 v[8:9], v[4:5], v[58:59]
	v_mov_b32_e32 v21, v1
	ds_read2_b64 v[0:3], v203 offset0:204 offset1:221
	v_pk_add_f32 v[22:23], v[8:9], v[20:21]
	ds_read2_b64 v[8:11], v203 offset0:68 offset1:85
	ds_read2_b64 v[12:15], v84 offset0:84 offset1:101
	s_waitcnt lgkmcnt(2)
	v_pk_mul_f32 v[60:61], v[2:3], v[16:17] op_sel:[0,1]
	s_nop 0
	v_pk_fma_f32 v[62:63], v[2:3], v[16:17], v[60:61] op_sel:[0,0,1] op_sel_hi:[1,1,0] neg_lo:[0,0,1] neg_hi:[0,0,1]
	v_pk_fma_f32 v[2:3], v[2:3], v[16:17], v[60:61] op_sel:[0,0,1] op_sel_hi:[1,0,0]
	s_nop 0
	v_mov_b32_e32 v2, v19
	v_mov_b32_e32 v63, v3
	s_waitcnt lgkmcnt(0)
	v_pk_mul_f32 v[2:3], v[14:15], v[2:3] op_sel_hi:[1,0]
	s_nop 0
	v_pk_fma_f32 v[60:61], v[14:15], v[18:19], v[2:3] op_sel:[0,0,1] op_sel_hi:[1,1,0] neg_lo:[0,0,1] neg_hi:[0,0,1]
	v_pk_fma_f32 v[2:3], v[14:15], v[18:19], v[2:3] op_sel:[0,0,1] op_sel_hi:[1,0,0]
	s_nop 0
	v_mov_b32_e32 v61, v3
	v_pk_add_f32 v[2:3], v[10:11], v[62:63]
	s_nop 0
	v_pk_add_f32 v[66:67], v[2:3], v[60:61]
	s_waitcnt vmcnt(0)
	v_pk_mul_f32 v[2:3], v[0:1], v[38:39] op_sel:[0,1]
	s_nop 0
	v_pk_fma_f32 v[70:71], v[0:1], v[38:39], v[2:3] op_sel:[0,0,1] op_sel_hi:[1,1,0] neg_lo:[0,0,1] neg_hi:[0,0,1]
	v_pk_fma_f32 v[0:1], v[0:1], v[38:39], v[2:3] op_sel:[0,0,1] op_sel_hi:[1,0,0]
	s_nop 0
	v_mov_b32_e32 v0, v41
	v_mov_b32_e32 v71, v1
	v_pk_mul_f32 v[0:1], v[12:13], v[0:1] op_sel_hi:[1,0]
	s_nop 0
	v_pk_fma_f32 v[38:39], v[12:13], v[40:41], v[0:1] op_sel:[0,0,1] op_sel_hi:[1,1,0] neg_lo:[0,0,1] neg_hi:[0,0,1]
	v_pk_fma_f32 v[0:1], v[12:13], v[40:41], v[0:1] op_sel:[0,0,1] op_sel_hi:[1,0,0]
	v_pk_add_f32 v[12:13], v[8:9], v[70:71]
	v_mov_b32_e32 v39, v1
	ds_read2_b64 v[0:3], v203 offset0:170 offset1:187
	v_pk_add_f32 v[40:41], v[12:13], v[38:39]
	ds_read2_b64 v[12:15], v203 offset0:34 offset1:51
	ds_read2_b64 v[16:19], v84 offset0:50 offset1:67
	s_waitcnt lgkmcnt(0)
	; wave barrier
	s_waitcnt lgkmcnt(0)
	v_pk_mul_f32 v[72:73], v[2:3], v[34:35] op_sel:[0,1]
	s_nop 0
	v_pk_fma_f32 v[74:75], v[2:3], v[34:35], v[72:73] op_sel:[0,0,1] op_sel_hi:[1,1,0] neg_lo:[0,0,1] neg_hi:[0,0,1]
	v_pk_fma_f32 v[2:3], v[2:3], v[34:35], v[72:73] op_sel:[0,0,1] op_sel_hi:[1,0,0]
	s_nop 0
	v_mov_b32_e32 v2, v37
	v_mov_b32_e32 v75, v3
	v_pk_mul_f32 v[2:3], v[18:19], v[2:3] op_sel_hi:[1,0]
	s_nop 0
	v_pk_fma_f32 v[34:35], v[18:19], v[36:37], v[2:3] op_sel:[0,0,1] op_sel_hi:[1,1,0] neg_lo:[0,0,1] neg_hi:[0,0,1]
	v_pk_fma_f32 v[2:3], v[18:19], v[36:37], v[2:3] op_sel:[0,0,1] op_sel_hi:[1,0,0]
	v_pk_mul_f32 v[18:19], v[0:1], v[30:31] op_sel:[0,1]
	v_mov_b32_e32 v35, v3
	v_pk_fma_f32 v[36:37], v[0:1], v[30:31], v[18:19] op_sel:[0,0,1] op_sel_hi:[1,1,0] neg_lo:[0,0,1] neg_hi:[0,0,1]
	v_pk_fma_f32 v[0:1], v[0:1], v[30:31], v[18:19] op_sel:[0,0,1] op_sel_hi:[1,0,0]
	v_pk_add_f32 v[2:3], v[14:15], v[74:75]
	v_mov_b32_e32 v0, v33
	v_mov_b32_e32 v37, v1
	v_pk_mul_f32 v[0:1], v[16:17], v[0:1] op_sel_hi:[1,0]
	v_pk_add_f32 v[2:3], v[2:3], v[34:35]
	v_pk_fma_f32 v[18:19], v[16:17], v[32:33], v[0:1] op_sel:[0,0,1] op_sel_hi:[1,1,0] neg_lo:[0,0,1] neg_hi:[0,0,1]
	v_pk_fma_f32 v[0:1], v[16:17], v[32:33], v[0:1] op_sel:[0,0,1] op_sel_hi:[1,0,0]
	v_mov_b32_e32 v16, v26
	v_mov_b32_e32 v17, v43
	;; [unrolled: 1-line block ×3, first 2 shown]
	ds_write2_b64 v203, v[44:45], v[16:17] offset1:17
	v_mov_b32_e32 v16, v48
	v_mov_b32_e32 v17, v51
	;; [unrolled: 1-line block ×3, first 2 shown]
	ds_write2_b64 v203, v[16:17], v[50:51] offset0:68 offset1:85
	v_pk_add_f32 v[16:17], v[36:37], v[18:19]
	v_pk_add_f32 v[0:1], v[12:13], v[36:37]
	v_pk_fma_f32 v[12:13], v[16:17], 0.5, v[12:13] op_sel_hi:[1,0,1] neg_lo:[1,0,0] neg_hi:[1,0,0]
	v_pk_add_f32 v[16:17], v[36:37], v[18:19] neg_lo:[0,1] neg_hi:[0,1]
	v_pk_add_f32 v[0:1], v[0:1], v[18:19]
	v_pk_mul_f32 v[16:17], v[16:17], s[0:1] op_sel_hi:[1,0]
	v_mov_b32_e32 v43, v27
	v_pk_add_f32 v[18:19], v[12:13], v[16:17] op_sel:[0,1] op_sel_hi:[1,0]
	v_pk_add_f32 v[12:13], v[12:13], v[16:17] op_sel:[0,1] op_sel_hi:[1,0] neg_lo:[0,1] neg_hi:[0,1]
	v_mov_b32_e32 v16, v18
	v_mov_b32_e32 v17, v13
	;; [unrolled: 1-line block ×3, first 2 shown]
	ds_write2_b64 v203, v[42:43], v[46:47] offset0:34 offset1:51
	ds_write2_b64 v24, v[0:1], v[16:17] offset0:102 offset1:119
	ds_write_b64 v24, v[12:13] offset:1088
	v_pk_add_f32 v[0:1], v[74:75], v[34:35]
	v_pk_add_f32 v[12:13], v[74:75], v[34:35] neg_lo:[0,1] neg_hi:[0,1]
	v_pk_fma_f32 v[0:1], v[0:1], 0.5, v[14:15] op_sel_hi:[1,0,1] neg_lo:[1,0,0] neg_hi:[1,0,0]
	v_pk_mul_f32 v[12:13], v[12:13], s[0:1] op_sel_hi:[1,0]
	v_mul_i32_i24_e32 v24, 7, v202
	v_pk_add_f32 v[14:15], v[0:1], v[12:13] op_sel:[0,1] op_sel_hi:[1,0]
	v_pk_add_f32 v[0:1], v[0:1], v[12:13] op_sel:[0,1] op_sel_hi:[1,0] neg_lo:[0,1] neg_hi:[0,1]
	v_mov_b32_e32 v12, v14
	v_mov_b32_e32 v13, v1
	;; [unrolled: 1-line block ×3, first 2 shown]
	ds_write2_b64 v29, v[2:3], v[12:13] offset0:153 offset1:170
	ds_write_b64 v29, v[0:1] offset:1496
	v_pk_add_f32 v[0:1], v[70:71], v[38:39]
	v_pk_add_f32 v[2:3], v[70:71], v[38:39] neg_lo:[0,1] neg_hi:[0,1]
	v_pk_fma_f32 v[0:1], v[0:1], 0.5, v[8:9] op_sel_hi:[1,0,1] neg_lo:[1,0,0] neg_hi:[1,0,0]
	v_pk_mul_f32 v[2:3], v[2:3], s[0:1] op_sel_hi:[1,0]
	s_nop 0
	v_pk_add_f32 v[8:9], v[0:1], v[2:3] op_sel:[0,1] op_sel_hi:[1,0]
	v_pk_add_f32 v[0:1], v[0:1], v[2:3] op_sel:[0,1] op_sel_hi:[1,0] neg_lo:[0,1] neg_hi:[0,1]
	v_mov_b32_e32 v2, v8
	v_mov_b32_e32 v3, v1
	;; [unrolled: 1-line block ×3, first 2 shown]
	ds_write2_b64 v76, v[40:41], v[2:3] offset0:204 offset1:221
	ds_write_b64 v76, v[0:1] offset:1904
	v_pk_add_f32 v[0:1], v[62:63], v[60:61]
	v_pk_add_f32 v[2:3], v[62:63], v[60:61] neg_lo:[0,1] neg_hi:[0,1]
	v_pk_fma_f32 v[0:1], v[0:1], 0.5, v[10:11] op_sel_hi:[1,0,1] neg_lo:[1,0,0] neg_hi:[1,0,0]
	v_pk_mul_f32 v[2:3], v[2:3], s[0:1] op_sel_hi:[1,0]
	s_nop 0
	v_pk_add_f32 v[8:9], v[0:1], v[2:3] op_sel:[0,1] op_sel_hi:[1,0]
	v_pk_add_f32 v[0:1], v[0:1], v[2:3] op_sel:[0,1] op_sel_hi:[1,0] neg_lo:[0,1] neg_hi:[0,1]
	v_mov_b32_e32 v2, v8
	v_mov_b32_e32 v3, v1
	v_add_u32_e32 v1, 0x400, v77
	ds_write2_b64 v1, v[66:67], v[2:3] offset0:127 offset1:144
	v_mov_b32_e32 v1, v9
	ds_write_b64 v77, v[0:1] offset:2312
	v_pk_add_f32 v[0:1], v[58:59], v[20:21]
	v_pk_add_f32 v[2:3], v[58:59], v[20:21] neg_lo:[0,1] neg_hi:[0,1]
	v_pk_fma_f32 v[0:1], v[0:1], 0.5, v[4:5] op_sel_hi:[1,0,1] neg_lo:[1,0,0] neg_hi:[1,0,0]
	v_pk_mul_f32 v[2:3], v[2:3], s[0:1] op_sel_hi:[1,0]
	s_nop 0
	v_pk_add_f32 v[4:5], v[0:1], v[2:3] op_sel:[0,1] op_sel_hi:[1,0]
	v_pk_add_f32 v[0:1], v[0:1], v[2:3] op_sel:[0,1] op_sel_hi:[1,0] neg_lo:[0,1] neg_hi:[0,1]
	v_mov_b32_e32 v2, v4
	v_mov_b32_e32 v3, v1
	v_add_u32_e32 v1, 0x800, v78
	ds_write2_b64 v1, v[22:23], v[2:3] offset0:50 offset1:67
	v_mov_b32_e32 v1, v5
	ds_write_b64 v78, v[0:1] offset:2720
	v_pk_add_f32 v[0:1], v[54:55], v[52:53]
	v_pk_add_f32 v[2:3], v[54:55], v[52:53] neg_lo:[0,1] neg_hi:[0,1]
	v_pk_fma_f32 v[0:1], v[0:1], 0.5, v[6:7] op_sel_hi:[1,0,1] neg_lo:[1,0,0] neg_hi:[1,0,0]
	v_pk_mul_f32 v[2:3], v[2:3], s[0:1] op_sel_hi:[1,0]
	v_add_u32_e32 v6, 0x400, v203
	v_pk_add_f32 v[4:5], v[0:1], v[2:3] op_sel:[0,1] op_sel_hi:[1,0]
	v_pk_add_f32 v[0:1], v[0:1], v[2:3] op_sel:[0,1] op_sel_hi:[1,0] neg_lo:[0,1] neg_hi:[0,1]
	v_mov_b32_e32 v2, v4
	v_mov_b32_e32 v3, v1
	v_add_u32_e32 v1, 0x800, v79
	ds_write2_b64 v1, v[56:57], v[2:3] offset0:101 offset1:118
	v_mov_b32_e32 v1, v5
	ds_write_b64 v79, v[0:1] offset:3128
	v_mul_u32_u24_e32 v0, 7, v154
	v_lshlrev_b32_e32 v0, 3, v0
	s_waitcnt lgkmcnt(0)
	; wave barrier
	s_waitcnt lgkmcnt(0)
	global_load_dwordx4 v[30:33], v0, s[8:9] offset:272
	global_load_dwordx4 v[34:37], v0, s[8:9] offset:288
	;; [unrolled: 1-line block ×3, first 2 shown]
	global_load_dwordx2 v[62:63], v0, s[8:9] offset:320
	global_load_dwordx4 v[42:45], v0, s[8:9] offset:2176
	global_load_dwordx4 v[46:49], v0, s[8:9] offset:2192
	ds_read2_b64 v[50:53], v203 offset0:34 offset1:51
	ds_read2_b64 v[16:19], v203 offset0:102 offset1:119
	;; [unrolled: 1-line block ×3, first 2 shown]
	global_load_dwordx2 v[66:67], v0, s[8:9] offset:2224
	global_load_dwordx4 v[58:61], v0, s[8:9] offset:2208
	v_lshl_add_u64 v[4:5], v[24:25], 3, s[8:9]
	ds_read2_b32 v[70:71], v6 offset0:152 offset1:153
	global_load_dwordx2 v[26:27], v[4:5], off offset:320
	global_load_dwordx4 v[0:3], v[4:5], off offset:304
	global_load_dwordx4 v[8:11], v[4:5], off offset:288
	;; [unrolled: 1-line block ×3, first 2 shown]
	ds_read2_b64 v[12:15], v6 offset0:127 offset1:144
	ds_read2_b64 v[72:75], v84 offset0:33 offset1:50
	;; [unrolled: 1-line block ×3, first 2 shown]
	s_mov_b32 s0, 0x3f3504f3
	s_waitcnt vmcnt(11) lgkmcnt(6)
	v_pk_mul_f32 v[76:77], v[30:31], v[52:53] op_sel:[0,1]
	s_nop 0
	v_pk_fma_f32 v[78:79], v[30:31], v[52:53], v[76:77] op_sel:[0,0,1] op_sel_hi:[1,1,0] neg_lo:[0,0,1] neg_hi:[0,0,1]
	v_pk_fma_f32 v[30:31], v[30:31], v[52:53], v[76:77] op_sel:[0,0,1] op_sel_hi:[1,0,0]
	s_waitcnt vmcnt(7)
	v_mov_b32_e32 v24, v45
	v_mov_b32_e32 v79, v31
	s_waitcnt lgkmcnt(5)
	v_pk_mul_f32 v[30:31], v[32:33], v[16:17] op_sel:[0,1]
	s_nop 0
	v_pk_fma_f32 v[52:53], v[32:33], v[16:17], v[30:31] op_sel:[0,0,1] op_sel_hi:[1,1,0] neg_lo:[0,0,1] neg_hi:[0,0,1]
	v_pk_fma_f32 v[16:17], v[32:33], v[16:17], v[30:31] op_sel:[0,0,1] op_sel_hi:[1,0,0]
	s_nop 0
	v_mov_b32_e32 v53, v17
	s_waitcnt lgkmcnt(4)
	v_pk_mul_f32 v[16:17], v[34:35], v[56:57] op_sel:[0,1]
	s_nop 0
	v_pk_fma_f32 v[30:31], v[34:35], v[56:57], v[16:17] op_sel:[0,0,1] op_sel_hi:[1,1,0] neg_lo:[0,0,1] neg_hi:[0,0,1]
	v_pk_fma_f32 v[16:17], v[34:35], v[56:57], v[16:17] op_sel:[0,0,1] op_sel_hi:[1,0,0]
	s_waitcnt lgkmcnt(3)
	v_mov_b32_e32 v16, v71
	v_mov_b32_e32 v31, v17
	v_pk_mul_f32 v[16:17], v[16:17], v[36:37] op_sel_hi:[0,1]
	v_pk_fma_f32 v[32:33], v[36:37], v[70:71], v[16:17] op_sel:[0,0,1] op_sel_hi:[1,1,0] neg_lo:[0,0,1] neg_hi:[0,0,1]
	v_pk_fma_f32 v[16:17], v[36:37], v[70:71], v[16:17] op_sel:[0,0,1] op_sel_hi:[1,0,0]
	s_nop 0
	v_mov_b32_e32 v33, v17
	s_waitcnt lgkmcnt(2)
	v_pk_mul_f32 v[16:17], v[12:13], v[38:39] op_sel:[0,1]
	s_nop 0
	v_pk_fma_f32 v[34:35], v[12:13], v[38:39], v[16:17] op_sel:[0,0,1] op_sel_hi:[1,1,0] neg_lo:[0,0,1] neg_hi:[0,0,1]
	v_pk_fma_f32 v[12:13], v[12:13], v[38:39], v[16:17] op_sel:[0,0,1] op_sel_hi:[1,0,0]
	ds_read_b64 v[38:39], v88
	v_mov_b32_e32 v12, v41
	v_mov_b32_e32 v35, v13
	s_waitcnt lgkmcnt(2)
	v_pk_mul_f32 v[12:13], v[74:75], v[12:13] op_sel_hi:[1,0]
	s_waitcnt lgkmcnt(0)
	v_pk_add_f32 v[56:57], v[38:39], v[32:33] neg_lo:[0,1] neg_hi:[0,1]
	v_pk_fma_f32 v[16:17], v[74:75], v[40:41], v[12:13] op_sel:[0,0,1] op_sel_hi:[1,1,0] neg_lo:[0,0,1] neg_hi:[0,0,1]
	v_pk_fma_f32 v[12:13], v[74:75], v[40:41], v[12:13] op_sel:[0,0,1] op_sel_hi:[1,0,0]
	v_pk_fma_f32 v[32:33], v[38:39], 2.0, v[56:57] op_sel_hi:[1,0,1] neg_lo:[0,0,1] neg_hi:[0,0,1]
	v_mov_b32_e32 v17, v13
	v_pk_mul_f32 v[12:13], v[4:5], v[62:63] op_sel:[0,1]
	v_pk_add_f32 v[16:17], v[52:53], v[16:17] neg_lo:[0,1] neg_hi:[0,1]
	v_pk_fma_f32 v[36:37], v[4:5], v[62:63], v[12:13] op_sel:[0,0,1] op_sel_hi:[1,1,0] neg_lo:[0,0,1] neg_hi:[0,0,1]
	v_pk_fma_f32 v[4:5], v[4:5], v[62:63], v[12:13] op_sel:[0,0,1] op_sel_hi:[1,0,0]
	v_pk_fma_f32 v[38:39], v[52:53], 2.0, v[16:17] op_sel_hi:[1,0,1] neg_lo:[0,0,1] neg_hi:[0,0,1]
	v_mov_b32_e32 v37, v5
	v_pk_add_f32 v[52:53], v[78:79], v[34:35] neg_lo:[0,1] neg_hi:[0,1]
	v_pk_add_f32 v[62:63], v[30:31], v[36:37] neg_lo:[0,1] neg_hi:[0,1]
	v_pk_fma_f32 v[34:35], v[78:79], 2.0, v[52:53] op_sel_hi:[1,0,1] neg_lo:[0,0,1] neg_hi:[0,0,1]
	v_pk_fma_f32 v[30:31], v[30:31], 2.0, v[62:63] op_sel_hi:[1,0,1] neg_lo:[0,0,1] neg_hi:[0,0,1]
	v_pk_add_f32 v[70:71], v[32:33], v[38:39] neg_lo:[0,1] neg_hi:[0,1]
	v_pk_add_f32 v[78:79], v[34:35], v[30:31] neg_lo:[0,1] neg_hi:[0,1]
	v_pk_fma_f32 v[36:37], v[32:33], 2.0, v[70:71] op_sel_hi:[1,0,1] neg_lo:[0,0,1] neg_hi:[0,0,1]
	v_pk_fma_f32 v[30:31], v[34:35], 2.0, v[78:79] op_sel_hi:[1,0,1] neg_lo:[0,0,1] neg_hi:[0,0,1]
	ds_read_b64 v[4:5], v203 offset:3128
	ds_read_b64 v[12:13], v28
	v_pk_add_f32 v[80:81], v[36:37], v[30:31] neg_lo:[0,1] neg_hi:[0,1]
	ds_read2_b64 v[30:33], v203 offset0:68 offset1:85
	v_pk_fma_f32 v[82:83], v[36:37], 2.0, v[80:81] op_sel_hi:[1,0,1] neg_lo:[0,0,1] neg_hi:[0,0,1]
	ds_read2_b64 v[34:37], v203 offset0:170 offset1:187
	ds_read2_b64 v[38:41], v203 offset0:221 offset1:238
	;; [unrolled: 1-line block ×3, first 2 shown]
	s_waitcnt lgkmcnt(0)
	; wave barrier
	s_waitcnt lgkmcnt(0)
	v_pk_mul_f32 v[84:85], v[32:33], v[42:43] op_sel:[0,1]
	s_nop 0
	v_pk_fma_f32 v[86:87], v[32:33], v[42:43], v[84:85] op_sel:[0,0,1] op_sel_hi:[1,1,0] neg_lo:[0,0,1] neg_hi:[0,0,1]
	v_pk_fma_f32 v[32:33], v[32:33], v[42:43], v[84:85] op_sel:[0,0,1] op_sel_hi:[1,0,0]
	s_nop 0
	v_mov_b32_e32 v87, v33
	v_pk_mul_f32 v[32:33], v[54:55], v[24:25] op_sel_hi:[1,0]
	s_waitcnt vmcnt(6)
	v_mov_b32_e32 v24, v49
	v_pk_fma_f32 v[42:43], v[54:55], v[44:45], v[32:33] op_sel:[0,0,1] op_sel_hi:[1,1,0] neg_lo:[0,0,1] neg_hi:[0,0,1]
	v_pk_fma_f32 v[32:33], v[54:55], v[44:45], v[32:33] op_sel:[0,0,1] op_sel_hi:[1,0,0]
	v_pk_add_f32 v[54:55], v[52:53], v[62:63] op_sel:[0,1] op_sel_hi:[1,0] neg_lo:[0,1] neg_hi:[0,1]
	v_mov_b32_e32 v43, v33
	v_pk_mul_f32 v[32:33], v[36:37], v[46:47] op_sel:[0,1]
	s_nop 0
	v_pk_fma_f32 v[44:45], v[36:37], v[46:47], v[32:33] op_sel:[0,0,1] op_sel_hi:[1,1,0] neg_lo:[0,0,1] neg_hi:[0,0,1]
	v_pk_fma_f32 v[32:33], v[36:37], v[46:47], v[32:33] op_sel:[0,0,1] op_sel_hi:[1,0,0]
	s_nop 0
	v_mov_b32_e32 v45, v33
	v_pk_mul_f32 v[32:33], v[40:41], v[24:25] op_sel_hi:[1,0]
	s_waitcnt vmcnt(4)
	v_mov_b32_e32 v24, v61
	v_pk_fma_f32 v[36:37], v[40:41], v[48:49], v[32:33] op_sel:[0,0,1] op_sel_hi:[1,1,0] neg_lo:[0,0,1] neg_hi:[0,0,1]
	v_pk_fma_f32 v[32:33], v[40:41], v[48:49], v[32:33] op_sel:[0,0,1] op_sel_hi:[1,0,0]
	s_nop 0
	v_mov_b32_e32 v37, v33
	v_pk_mul_f32 v[32:33], v[72:73], v[58:59] op_sel:[0,1]
	s_nop 0
	v_pk_fma_f32 v[40:41], v[72:73], v[58:59], v[32:33] op_sel:[0,0,1] op_sel_hi:[1,1,0] neg_lo:[0,0,1] neg_hi:[0,0,1]
	v_pk_fma_f32 v[32:33], v[72:73], v[58:59], v[32:33] op_sel:[0,0,1] op_sel_hi:[1,0,0]
	s_nop 0
	v_mov_b32_e32 v41, v33
	v_pk_mul_f32 v[32:33], v[76:77], v[24:25] op_sel_hi:[1,0]
	v_pk_add_f32 v[40:41], v[86:87], v[40:41] neg_lo:[0,1] neg_hi:[0,1]
	v_pk_fma_f32 v[46:47], v[76:77], v[60:61], v[32:33] op_sel:[0,0,1] op_sel_hi:[1,1,0] neg_lo:[0,0,1] neg_hi:[0,0,1]
	v_pk_fma_f32 v[32:33], v[76:77], v[60:61], v[32:33] op_sel:[0,0,1] op_sel_hi:[1,0,0]
	s_nop 0
	v_mov_b32_e32 v47, v33
	v_pk_mul_f32 v[32:33], v[4:5], v[66:67] op_sel:[0,1]
	s_nop 0
	v_pk_fma_f32 v[48:49], v[4:5], v[66:67], v[32:33] op_sel:[0,0,1] op_sel_hi:[1,1,0] neg_lo:[0,0,1] neg_hi:[0,0,1]
	v_pk_fma_f32 v[4:5], v[4:5], v[66:67], v[32:33] op_sel:[0,0,1] op_sel_hi:[1,0,0]
	s_nop 0
	v_mov_b32_e32 v49, v5
	v_pk_add_f32 v[4:5], v[50:51], v[36:37] neg_lo:[0,1] neg_hi:[0,1]
	v_pk_add_f32 v[36:37], v[42:43], v[46:47] neg_lo:[0,1] neg_hi:[0,1]
	v_pk_fma_f32 v[32:33], v[50:51], 2.0, v[4:5] op_sel_hi:[1,0,1] neg_lo:[0,0,1] neg_hi:[0,0,1]
	v_pk_add_f32 v[50:51], v[56:57], v[16:17] op_sel:[0,1] op_sel_hi:[1,0] neg_lo:[0,1] neg_hi:[0,1]
	v_pk_add_f32 v[16:17], v[56:57], v[16:17] op_sel:[0,1] op_sel_hi:[1,0]
	v_pk_add_f32 v[48:49], v[44:45], v[48:49] neg_lo:[0,1] neg_hi:[0,1]
	v_mov_b32_e32 v51, v17
	v_pk_fma_f32 v[16:17], v[56:57], 2.0, v[50:51] op_sel_hi:[1,0,1] neg_lo:[0,0,1] neg_hi:[0,0,1]
	v_pk_add_f32 v[56:57], v[52:53], v[62:63] op_sel:[0,1] op_sel_hi:[1,0]
	v_pk_fma_f32 v[42:43], v[42:43], 2.0, v[36:37] op_sel_hi:[1,0,1] neg_lo:[0,0,1] neg_hi:[0,0,1]
	v_mov_b32_e32 v55, v57
	v_pk_fma_f32 v[52:53], v[52:53], 2.0, v[54:55] op_sel_hi:[1,0,1] neg_lo:[0,0,1] neg_hi:[0,0,1]
	v_pk_mul_f32 v[60:61], v[54:55], s[0:1] op_sel_hi:[1,0]
	v_pk_fma_f32 v[54:55], v[54:55], s[0:1], v[50:51] op_sel_hi:[1,0,1]
	v_pk_mul_f32 v[56:57], v[52:53], s[0:1] op_sel_hi:[1,0]
	v_pk_add_f32 v[62:63], v[54:55], v[60:61] op_sel:[0,1] op_sel_hi:[1,0] neg_lo:[0,1] neg_hi:[0,1]
	v_pk_add_f32 v[54:55], v[54:55], v[60:61] op_sel:[0,1] op_sel_hi:[1,0]
	v_pk_fma_f32 v[52:53], v[52:53], s[0:1], v[16:17] op_sel_hi:[1,0,1] neg_lo:[1,0,0] neg_hi:[1,0,0]
	v_mov_b32_e32 v63, v55
	s_waitcnt vmcnt(0)
	v_pk_mul_f32 v[54:55], v[30:31], v[20:21] op_sel:[0,1]
	v_pk_add_f32 v[58:59], v[52:53], v[56:57] op_sel:[0,1] op_sel_hi:[1,0] neg_lo:[0,1] neg_hi:[0,1]
	v_pk_fma_f32 v[60:61], v[30:31], v[20:21], v[54:55] op_sel:[0,0,1] op_sel_hi:[1,1,0] neg_lo:[0,0,1] neg_hi:[0,0,1]
	v_pk_fma_f32 v[20:21], v[30:31], v[20:21], v[54:55] op_sel:[0,0,1] op_sel_hi:[1,0,0]
	v_pk_add_f32 v[52:53], v[52:53], v[56:57] op_sel:[0,1] op_sel_hi:[1,0]
	v_mov_b32_e32 v20, v23
	v_mov_b32_e32 v61, v21
	v_pk_mul_f32 v[20:21], v[18:19], v[20:21] op_sel_hi:[1,0]
	v_mov_b32_e32 v59, v53
	v_pk_fma_f32 v[30:31], v[18:19], v[22:23], v[20:21] op_sel:[0,0,1] op_sel_hi:[1,1,0] neg_lo:[0,0,1] neg_hi:[0,0,1]
	v_pk_fma_f32 v[18:19], v[18:19], v[22:23], v[20:21] op_sel:[0,0,1] op_sel_hi:[1,0,0]
	v_pk_add_f32 v[52:53], v[70:71], v[78:79] op_sel:[0,1] op_sel_hi:[1,0] neg_lo:[0,1] neg_hi:[0,1]
	v_mov_b32_e32 v31, v19
	v_pk_mul_f32 v[18:19], v[34:35], v[8:9] op_sel:[0,1]
	v_pk_add_f32 v[56:57], v[70:71], v[78:79] op_sel:[0,1] op_sel_hi:[1,0]
	v_pk_fma_f32 v[20:21], v[34:35], v[8:9], v[18:19] op_sel:[0,0,1] op_sel_hi:[1,1,0] neg_lo:[0,0,1] neg_hi:[0,0,1]
	v_pk_fma_f32 v[8:9], v[34:35], v[8:9], v[18:19] op_sel:[0,0,1] op_sel_hi:[1,0,0]
	v_pk_fma_f32 v[16:17], v[16:17], 2.0, v[58:59] op_sel_hi:[1,0,1] neg_lo:[0,0,1] neg_hi:[0,0,1]
	v_mov_b32_e32 v8, v11
	v_mov_b32_e32 v21, v9
	v_pk_mul_f32 v[8:9], v[38:39], v[8:9] op_sel_hi:[1,0]
	v_mov_b32_e32 v53, v57
	v_pk_fma_f32 v[18:19], v[38:39], v[10:11], v[8:9] op_sel:[0,0,1] op_sel_hi:[1,1,0] neg_lo:[0,0,1] neg_hi:[0,0,1]
	v_pk_fma_f32 v[8:9], v[38:39], v[10:11], v[8:9] op_sel:[0,0,1] op_sel_hi:[1,0,0]
	v_pk_fma_f32 v[56:57], v[70:71], 2.0, v[52:53] op_sel_hi:[1,0,1] neg_lo:[0,0,1] neg_hi:[0,0,1]
	v_mov_b32_e32 v19, v9
	v_pk_mul_f32 v[8:9], v[14:15], v[0:1] op_sel:[0,1]
	v_pk_fma_f32 v[50:51], v[50:51], 2.0, v[62:63] op_sel_hi:[1,0,1] neg_lo:[0,0,1] neg_hi:[0,0,1]
	v_pk_fma_f32 v[10:11], v[14:15], v[0:1], v[8:9] op_sel:[0,0,1] op_sel_hi:[1,1,0] neg_lo:[0,0,1] neg_hi:[0,0,1]
	v_pk_fma_f32 v[0:1], v[14:15], v[0:1], v[8:9] op_sel:[0,0,1] op_sel_hi:[1,0,0]
	ds_write_b64 v203, v[82:83]
	ds_write_b64 v203, v[16:17] offset:408
	ds_write_b64 v203, v[56:57] offset:816
	;; [unrolled: 1-line block ×7, first 2 shown]
	v_mov_b32_e32 v0, v3
	v_mov_b32_e32 v11, v1
	v_pk_mul_f32 v[0:1], v[74:75], v[0:1] op_sel_hi:[1,0]
	v_pk_add_f32 v[10:11], v[60:61], v[10:11] neg_lo:[0,1] neg_hi:[0,1]
	v_pk_fma_f32 v[8:9], v[74:75], v[2:3], v[0:1] op_sel:[0,0,1] op_sel_hi:[1,1,0] neg_lo:[0,0,1] neg_hi:[0,0,1]
	v_pk_fma_f32 v[0:1], v[74:75], v[2:3], v[0:1] op_sel:[0,0,1] op_sel_hi:[1,0,0]
	v_pk_fma_f32 v[14:15], v[60:61], 2.0, v[10:11] op_sel_hi:[1,0,1] neg_lo:[0,0,1] neg_hi:[0,0,1]
	v_mov_b32_e32 v9, v1
	v_pk_mul_f32 v[0:1], v[6:7], v[26:27] op_sel:[0,1]
	v_pk_add_f32 v[8:9], v[30:31], v[8:9] neg_lo:[0,1] neg_hi:[0,1]
	v_pk_fma_f32 v[2:3], v[6:7], v[26:27], v[0:1] op_sel:[0,0,1] op_sel_hi:[1,1,0] neg_lo:[0,0,1] neg_hi:[0,0,1]
	v_pk_fma_f32 v[0:1], v[6:7], v[26:27], v[0:1] op_sel:[0,0,1] op_sel_hi:[1,0,0]
	v_pk_fma_f32 v[46:47], v[86:87], 2.0, v[40:41] op_sel_hi:[1,0,1] neg_lo:[0,0,1] neg_hi:[0,0,1]
	v_mov_b32_e32 v3, v1
	v_pk_add_f32 v[0:1], v[12:13], v[18:19] neg_lo:[0,1] neg_hi:[0,1]
	v_pk_add_f32 v[2:3], v[20:21], v[2:3] neg_lo:[0,1] neg_hi:[0,1]
	v_pk_fma_f32 v[6:7], v[12:13], 2.0, v[0:1] op_sel_hi:[1,0,1] neg_lo:[0,0,1] neg_hi:[0,0,1]
	v_pk_fma_f32 v[12:13], v[30:31], 2.0, v[8:9] op_sel_hi:[1,0,1] neg_lo:[0,0,1] neg_hi:[0,0,1]
	v_pk_add_f32 v[16:17], v[0:1], v[8:9] op_sel:[0,1] op_sel_hi:[1,0] neg_lo:[0,1] neg_hi:[0,1]
	v_pk_add_f32 v[8:9], v[0:1], v[8:9] op_sel:[0,1] op_sel_hi:[1,0]
	v_pk_fma_f32 v[18:19], v[20:21], 2.0, v[2:3] op_sel_hi:[1,0,1] neg_lo:[0,0,1] neg_hi:[0,0,1]
	v_mov_b32_e32 v17, v9
	v_pk_add_f32 v[8:9], v[10:11], v[2:3] op_sel:[0,1] op_sel_hi:[1,0] neg_lo:[0,1] neg_hi:[0,1]
	v_pk_add_f32 v[2:3], v[10:11], v[2:3] op_sel:[0,1] op_sel_hi:[1,0]
	v_pk_fma_f32 v[0:1], v[0:1], 2.0, v[16:17] op_sel_hi:[1,0,1] neg_lo:[0,0,1] neg_hi:[0,0,1]
	v_mov_b32_e32 v9, v3
	v_pk_fma_f32 v[2:3], v[10:11], 2.0, v[8:9] op_sel_hi:[1,0,1] neg_lo:[0,0,1] neg_hi:[0,0,1]
	v_pk_add_f32 v[12:13], v[6:7], v[12:13] neg_lo:[0,1] neg_hi:[0,1]
	v_pk_add_f32 v[18:19], v[14:15], v[18:19] neg_lo:[0,1] neg_hi:[0,1]
	v_pk_mul_f32 v[10:11], v[2:3], s[0:1] op_sel_hi:[1,0]
	v_pk_fma_f32 v[2:3], v[2:3], s[0:1], v[0:1] op_sel_hi:[1,0,1] neg_lo:[1,0,0] neg_hi:[1,0,0]
	v_pk_fma_f32 v[6:7], v[6:7], 2.0, v[12:13] op_sel_hi:[1,0,1] neg_lo:[0,0,1] neg_hi:[0,0,1]
	v_pk_fma_f32 v[14:15], v[14:15], 2.0, v[18:19] op_sel_hi:[1,0,1] neg_lo:[0,0,1] neg_hi:[0,0,1]
	v_pk_add_f32 v[20:21], v[2:3], v[10:11] op_sel:[0,1] op_sel_hi:[1,0] neg_lo:[0,1] neg_hi:[0,1]
	v_pk_add_f32 v[2:3], v[2:3], v[10:11] op_sel:[0,1] op_sel_hi:[1,0]
	v_pk_add_f32 v[14:15], v[6:7], v[14:15] neg_lo:[0,1] neg_hi:[0,1]
	v_mov_b32_e32 v21, v3
	v_pk_fma_f32 v[6:7], v[6:7], 2.0, v[14:15] op_sel_hi:[1,0,1] neg_lo:[0,0,1] neg_hi:[0,0,1]
	v_pk_fma_f32 v[0:1], v[0:1], 2.0, v[20:21] op_sel_hi:[1,0,1] neg_lo:[0,0,1] neg_hi:[0,0,1]
	ds_write2_b64 v28, v[6:7], v[0:1] offset1:51
	v_pk_mul_f32 v[6:7], v[8:9], s[0:1] op_sel_hi:[1,0]
	v_pk_fma_f32 v[8:9], v[8:9], s[0:1], v[16:17] op_sel_hi:[1,0,1]
	v_pk_fma_f32 v[44:45], v[44:45], 2.0, v[48:49] op_sel_hi:[1,0,1] neg_lo:[0,0,1] neg_hi:[0,0,1]
	v_pk_add_f32 v[0:1], v[12:13], v[18:19] op_sel:[0,1] op_sel_hi:[1,0] neg_lo:[0,1] neg_hi:[0,1]
	v_pk_add_f32 v[2:3], v[12:13], v[18:19] op_sel:[0,1] op_sel_hi:[1,0]
	v_pk_add_f32 v[10:11], v[8:9], v[6:7] op_sel:[0,1] op_sel_hi:[1,0] neg_lo:[0,1] neg_hi:[0,1]
	v_pk_add_f32 v[6:7], v[8:9], v[6:7] op_sel:[0,1] op_sel_hi:[1,0]
	v_pk_add_f32 v[42:43], v[32:33], v[42:43] neg_lo:[0,1] neg_hi:[0,1]
	v_pk_add_f32 v[44:45], v[46:47], v[44:45] neg_lo:[0,1] neg_hi:[0,1]
	v_mov_b32_e32 v1, v3
	v_mov_b32_e32 v11, v7
	v_pk_fma_f32 v[32:33], v[32:33], 2.0, v[42:43] op_sel_hi:[1,0,1] neg_lo:[0,0,1] neg_hi:[0,0,1]
	v_pk_fma_f32 v[46:47], v[46:47], 2.0, v[44:45] op_sel_hi:[1,0,1] neg_lo:[0,0,1] neg_hi:[0,0,1]
	;; [unrolled: 1-line block ×4, first 2 shown]
	v_pk_add_f32 v[46:47], v[32:33], v[46:47] neg_lo:[0,1] neg_hi:[0,1]
	ds_write2_b64 v28, v[2:3], v[6:7] offset0:102 offset1:153
	ds_write2_b64 v28, v[14:15], v[20:21] offset0:204 offset1:255
	v_add_u32_e32 v2, 0x800, v28
	v_pk_fma_f32 v[32:33], v[32:33], 2.0, v[46:47] op_sel_hi:[1,0,1] neg_lo:[0,0,1] neg_hi:[0,0,1]
	ds_write2_b64 v2, v[0:1], v[10:11] offset0:50 offset1:101
	ds_write_b64 v203, v[32:33] offset:272
	v_pk_add_f32 v[0:1], v[4:5], v[36:37] op_sel:[0,1] op_sel_hi:[1,0] neg_lo:[0,1] neg_hi:[0,1]
	v_pk_add_f32 v[2:3], v[4:5], v[36:37] op_sel:[0,1] op_sel_hi:[1,0]
	v_pk_add_f32 v[6:7], v[40:41], v[48:49] op_sel:[0,1] op_sel_hi:[1,0]
	v_mov_b32_e32 v1, v3
	v_pk_fma_f32 v[2:3], v[4:5], 2.0, v[0:1] op_sel_hi:[1,0,1] neg_lo:[0,0,1] neg_hi:[0,0,1]
	v_pk_add_f32 v[4:5], v[40:41], v[48:49] op_sel:[0,1] op_sel_hi:[1,0] neg_lo:[0,1] neg_hi:[0,1]
	v_accvgpr_read_b32 v26, a1
	v_mov_b32_e32 v5, v7
	v_pk_fma_f32 v[6:7], v[40:41], 2.0, v[4:5] op_sel_hi:[1,0,1] neg_lo:[0,0,1] neg_hi:[0,0,1]
	s_nop 0
	v_pk_mul_f32 v[8:9], v[6:7], s[0:1] op_sel_hi:[1,0]
	v_pk_fma_f32 v[6:7], v[6:7], s[0:1], v[2:3] op_sel_hi:[1,0,1] neg_lo:[1,0,0] neg_hi:[1,0,0]
	s_nop 0
	v_pk_add_f32 v[10:11], v[6:7], v[8:9] op_sel:[0,1] op_sel_hi:[1,0] neg_lo:[0,1] neg_hi:[0,1]
	v_pk_add_f32 v[6:7], v[6:7], v[8:9] op_sel:[0,1] op_sel_hi:[1,0]
	s_nop 0
	v_mov_b32_e32 v11, v7
	v_pk_fma_f32 v[2:3], v[2:3], 2.0, v[10:11] op_sel_hi:[1,0,1] neg_lo:[0,0,1] neg_hi:[0,0,1]
	ds_write_b64 v203, v[2:3] offset:680
	v_pk_add_f32 v[2:3], v[42:43], v[44:45] op_sel:[0,1] op_sel_hi:[1,0] neg_lo:[0,1] neg_hi:[0,1]
	v_pk_add_f32 v[6:7], v[42:43], v[44:45] op_sel:[0,1] op_sel_hi:[1,0]
	s_nop 0
	v_mov_b32_e32 v3, v7
	v_pk_fma_f32 v[6:7], v[42:43], 2.0, v[2:3] op_sel_hi:[1,0,1] neg_lo:[0,0,1] neg_hi:[0,0,1]
	ds_write_b64 v203, v[6:7] offset:1088
	v_pk_mul_f32 v[6:7], v[4:5], s[0:1] op_sel_hi:[1,0]
	v_pk_fma_f32 v[4:5], v[4:5], s[0:1], v[0:1] op_sel_hi:[1,0,1]
	v_cmp_ne_u32_e64 s[0:1], 0, v154
	v_pk_add_f32 v[8:9], v[4:5], v[6:7] op_sel:[0,1] op_sel_hi:[1,0] neg_lo:[0,1] neg_hi:[0,1]
	v_pk_add_f32 v[4:5], v[4:5], v[6:7] op_sel:[0,1] op_sel_hi:[1,0]
	s_nop 0
	v_mov_b32_e32 v9, v5
	v_pk_fma_f32 v[0:1], v[0:1], 2.0, v[8:9] op_sel_hi:[1,0,1] neg_lo:[0,0,1] neg_hi:[0,0,1]
	ds_write_b64 v203, v[0:1] offset:1496
	ds_write_b64 v203, v[46:47] offset:1904
	;; [unrolled: 1-line block ×5, first 2 shown]
	s_waitcnt lgkmcnt(0)
	; wave barrier
	s_waitcnt lgkmcnt(0)
	ds_read_b64 v[6:7], v88
	v_sub_u32_e32 v8, v26, v155
                                        ; implicit-def: $vgpr4_vgpr5
                                        ; implicit-def: $vgpr1
                                        ; implicit-def: $vgpr2_vgpr3
	s_and_saveexec_b64 s[4:5], s[0:1]
	s_xor_b64 s[0:1], exec, s[4:5]
	s_cbranch_execz .LBB0_16
; %bb.15:
	v_mov_b32_e32 v155, v25
	v_lshl_add_u64 v[0:1], v[154:155], 3, s[8:9]
	global_load_dwordx2 v[2:3], v[0:1], off offset:3128
	ds_read_b64 v[0:1], v8 offset:3264
	v_mov_b32_e32 v5, 0.5
	v_mov_b32_e32 v10, v5
	s_waitcnt lgkmcnt(0)
	v_pk_add_f32 v[12:13], v[0:1], v[6:7]
	v_pk_add_f32 v[0:1], v[6:7], v[0:1] neg_lo:[0,1] neg_hi:[0,1]
	v_mov_b32_e32 v6, v13
	v_mov_b32_e32 v7, v0
	v_pk_mul_f32 v[6:7], v[6:7], 0.5 op_sel_hi:[1,0]
	s_waitcnt vmcnt(0)
	v_mov_b32_e32 v4, v3
	v_mov_b32_e32 v0, v7
	;; [unrolled: 1-line block ×4, first 2 shown]
	v_pk_mul_f32 v[0:1], v[4:5], v[0:1]
	v_pk_mul_f32 v[14:15], v[2:3], v[6:7] op_sel_hi:[0,1]
	v_pk_fma_f32 v[4:5], v[12:13], v[10:11], v[0:1]
	v_pk_fma_f32 v[10:11], v[12:13], v[10:11], v[0:1] neg_lo:[0,0,1] neg_hi:[0,0,1]
	v_add_f32_e32 v0, v14, v4
	v_sub_f32_e32 v1, v5, v15
	v_pk_fma_f32 v[4:5], v[2:3], v[6:7], v[10:11] op_sel_hi:[0,1,1] neg_lo:[1,0,0] neg_hi:[1,0,0]
	ds_write_b32 v88, v0
	v_mov_b64_e32 v[2:3], v[154:155]
                                        ; implicit-def: $vgpr6_vgpr7
.LBB0_16:
	s_andn2_saveexec_b64 s[0:1], s[0:1]
	s_cbranch_execz .LBB0_18
; %bb.17:
	ds_read_b32 v2, v26 offset:1636
	s_waitcnt lgkmcnt(1)
	v_mov_b32_e32 v0, v7
	v_add_f32_e32 v1, v7, v6
	ds_write_b32 v88, v1
	v_pk_add_f32 v[0:1], v[6:7], v[0:1] neg_lo:[0,1] neg_hi:[0,1]
	s_waitcnt lgkmcnt(1)
	v_xor_b32_e32 v1, 0x80000000, v2
	ds_write_b32 v26, v1 offset:1636
	v_mov_b32_e32 v1, 0
	v_mov_b64_e32 v[2:3], 0
	v_mov_b64_e32 v[4:5], v[0:1]
.LBB0_18:
	s_or_b64 exec, exec, s[0:1]
	v_mov_b32_e32 v203, 0
	s_waitcnt lgkmcnt(0)
	v_lshl_add_u64 v[6:7], v[202:203], 3, s[8:9]
	global_load_dwordx2 v[6:7], v[6:7], off offset:3128
	s_add_u32 s0, s8, 0xc38
	s_addc_u32 s1, s9, 0
	v_lshl_add_u64 v[2:3], v[2:3], 3, s[0:1]
	global_load_dwordx2 v[10:11], v[2:3], off offset:272
	global_load_dwordx2 v[12:13], v[2:3], off offset:408
	;; [unrolled: 1-line block ×3, first 2 shown]
	ds_write_b32 v88, v1 offset:4
	ds_write_b64 v8, v[4:5] offset:3264
	v_lshl_add_u32 v9, v202, 3, v26
	ds_read_b64 v[4:5], v9
	ds_read_b64 v[16:17], v8 offset:3128
	global_load_dwordx2 v[20:21], v[2:3], off offset:680
	v_mov_b32_e32 v1, 0.5
	v_mov_b32_e32 v18, v1
	s_waitcnt lgkmcnt(0)
	v_pk_add_f32 v[22:23], v[4:5], v[16:17]
	v_pk_add_f32 v[4:5], v[4:5], v[16:17] neg_lo:[0,1] neg_hi:[0,1]
	v_mov_b32_e32 v16, v23
	v_mov_b32_e32 v17, v4
	v_pk_mul_f32 v[16:17], v[16:17], 0.5 op_sel_hi:[1,0]
	s_waitcnt vmcnt(4)
	v_mov_b32_e32 v0, v7
	v_mov_b32_e32 v4, v17
	;; [unrolled: 1-line block ×4, first 2 shown]
	v_pk_mul_f32 v[4:5], v[0:1], v[4:5]
	s_waitcnt vmcnt(3)
	v_mov_b32_e32 v0, v11
	v_pk_fma_f32 v[24:25], v[22:23], v[18:19], v[4:5]
	v_pk_fma_f32 v[4:5], v[22:23], v[18:19], v[4:5] neg_lo:[0,0,1] neg_hi:[0,0,1]
	v_pk_fma_f32 v[18:19], v[6:7], v[16:17], v[24:25]
	v_pk_fma_f32 v[22:23], v[6:7], v[16:17], v[24:25] op_sel_hi:[0,1,1] neg_lo:[1,0,0] neg_hi:[1,0,0]
	v_mov_b32_e32 v19, v23
	v_pk_fma_f32 v[4:5], v[6:7], v[16:17], v[4:5] op_sel_hi:[0,1,1] neg_lo:[1,0,0] neg_hi:[1,0,0]
	ds_write_b64 v9, v[18:19]
	ds_write_b64 v8, v[4:5] offset:3128
	ds_read_b64 v[4:5], v88 offset:272
	ds_read_b64 v[6:7], v8 offset:2992
	global_load_dwordx2 v[18:19], v[2:3], off offset:816
	v_mov_b32_e32 v16, v1
	v_mov_b32_e32 v17, v11
	s_waitcnt lgkmcnt(0)
	v_pk_add_f32 v[22:23], v[4:5], v[6:7]
	v_pk_add_f32 v[4:5], v[4:5], v[6:7] neg_lo:[0,1] neg_hi:[0,1]
	v_mov_b32_e32 v6, v23
	v_mov_b32_e32 v7, v4
	v_pk_mul_f32 v[6:7], v[6:7], 0.5 op_sel_hi:[1,0]
	s_nop 0
	v_mov_b32_e32 v4, v7
	v_mov_b32_e32 v23, v6
	v_pk_mul_f32 v[4:5], v[0:1], v[4:5]
	s_waitcnt vmcnt(3)
	v_mov_b32_e32 v0, v13
	v_pk_fma_f32 v[24:25], v[22:23], v[16:17], v[4:5]
	v_pk_fma_f32 v[4:5], v[22:23], v[16:17], v[4:5] neg_lo:[0,0,1] neg_hi:[0,0,1]
	v_pk_fma_f32 v[16:17], v[10:11], v[6:7], v[24:25]
	v_pk_fma_f32 v[22:23], v[10:11], v[6:7], v[24:25] op_sel_hi:[0,1,1] neg_lo:[1,0,0] neg_hi:[1,0,0]
	v_mov_b32_e32 v17, v23
	v_pk_fma_f32 v[4:5], v[10:11], v[6:7], v[4:5] op_sel_hi:[0,1,1] neg_lo:[1,0,0] neg_hi:[1,0,0]
	ds_write_b64 v88, v[16:17] offset:272
	ds_write_b64 v8, v[4:5] offset:2992
	ds_read_b64 v[4:5], v88 offset:408
	ds_read_b64 v[6:7], v8 offset:2856
	global_load_dwordx2 v[16:17], v[2:3], off offset:952
	v_mov_b32_e32 v10, v1
	v_mov_b32_e32 v11, v13
	s_waitcnt lgkmcnt(0)
	v_pk_add_f32 v[22:23], v[4:5], v[6:7]
	v_pk_add_f32 v[4:5], v[4:5], v[6:7] neg_lo:[0,1] neg_hi:[0,1]
	v_mov_b32_e32 v6, v23
	v_mov_b32_e32 v7, v4
	v_pk_mul_f32 v[6:7], v[6:7], 0.5 op_sel_hi:[1,0]
	s_nop 0
	v_mov_b32_e32 v4, v7
	v_mov_b32_e32 v23, v6
	v_pk_mul_f32 v[4:5], v[0:1], v[4:5]
	s_waitcnt vmcnt(3)
	v_mov_b32_e32 v0, v15
	v_pk_fma_f32 v[24:25], v[22:23], v[10:11], v[4:5]
	v_pk_fma_f32 v[4:5], v[22:23], v[10:11], v[4:5] neg_lo:[0,0,1] neg_hi:[0,0,1]
	v_pk_fma_f32 v[10:11], v[12:13], v[6:7], v[24:25]
	v_pk_fma_f32 v[22:23], v[12:13], v[6:7], v[24:25] op_sel_hi:[0,1,1] neg_lo:[1,0,0] neg_hi:[1,0,0]
	v_mov_b32_e32 v11, v23
	v_pk_fma_f32 v[4:5], v[12:13], v[6:7], v[4:5] op_sel_hi:[0,1,1] neg_lo:[1,0,0] neg_hi:[1,0,0]
	ds_write_b64 v88, v[10:11] offset:408
	ds_write_b64 v8, v[4:5] offset:2856
	ds_read_b64 v[4:5], v88 offset:544
	ds_read_b64 v[6:7], v8 offset:2720
	v_mov_b32_e32 v10, v1
	v_mov_b32_e32 v11, v15
	global_load_dwordx2 v[12:13], v[2:3], off offset:1088
	s_waitcnt lgkmcnt(0)
	v_pk_add_f32 v[22:23], v[4:5], v[6:7]
	v_pk_add_f32 v[4:5], v[4:5], v[6:7] neg_lo:[0,1] neg_hi:[0,1]
	v_mov_b32_e32 v6, v23
	v_mov_b32_e32 v7, v4
	v_pk_mul_f32 v[6:7], v[6:7], 0.5 op_sel_hi:[1,0]
	s_nop 0
	v_mov_b32_e32 v4, v7
	v_mov_b32_e32 v23, v6
	v_pk_mul_f32 v[4:5], v[0:1], v[4:5]
	s_waitcnt vmcnt(3)
	v_mov_b32_e32 v0, v21
	v_pk_fma_f32 v[24:25], v[22:23], v[10:11], v[4:5]
	v_pk_fma_f32 v[4:5], v[22:23], v[10:11], v[4:5] neg_lo:[0,0,1] neg_hi:[0,0,1]
	v_pk_fma_f32 v[10:11], v[14:15], v[6:7], v[24:25]
	v_pk_fma_f32 v[22:23], v[14:15], v[6:7], v[24:25] op_sel_hi:[0,1,1] neg_lo:[1,0,0] neg_hi:[1,0,0]
	v_mov_b32_e32 v11, v23
	v_pk_fma_f32 v[4:5], v[14:15], v[6:7], v[4:5] op_sel_hi:[0,1,1] neg_lo:[1,0,0] neg_hi:[1,0,0]
	ds_write_b64 v88, v[10:11] offset:544
	ds_write_b64 v8, v[4:5] offset:2720
	ds_read_b64 v[4:5], v88 offset:680
	ds_read_b64 v[6:7], v8 offset:2584
	v_mov_b32_e32 v10, v1
	v_mov_b32_e32 v11, v21
	global_load_dwordx2 v[14:15], v[2:3], off offset:1224
	s_waitcnt lgkmcnt(0)
	v_pk_add_f32 v[22:23], v[4:5], v[6:7]
	v_pk_add_f32 v[4:5], v[4:5], v[6:7] neg_lo:[0,1] neg_hi:[0,1]
	v_mov_b32_e32 v6, v23
	v_mov_b32_e32 v7, v4
	v_pk_mul_f32 v[6:7], v[6:7], 0.5 op_sel_hi:[1,0]
	s_nop 0
	v_mov_b32_e32 v4, v7
	v_mov_b32_e32 v23, v6
	v_pk_mul_f32 v[4:5], v[0:1], v[4:5]
	s_waitcnt vmcnt(3)
	v_mov_b32_e32 v0, v19
	v_pk_fma_f32 v[24:25], v[22:23], v[10:11], v[4:5]
	v_pk_fma_f32 v[4:5], v[22:23], v[10:11], v[4:5] neg_lo:[0,0,1] neg_hi:[0,0,1]
	v_pk_fma_f32 v[10:11], v[20:21], v[6:7], v[24:25]
	v_pk_fma_f32 v[22:23], v[20:21], v[6:7], v[24:25] op_sel_hi:[0,1,1] neg_lo:[1,0,0] neg_hi:[1,0,0]
	v_mov_b32_e32 v11, v23
	v_pk_fma_f32 v[4:5], v[20:21], v[6:7], v[4:5] op_sel_hi:[0,1,1] neg_lo:[1,0,0] neg_hi:[1,0,0]
	ds_write_b64 v88, v[10:11] offset:680
	ds_write_b64 v8, v[4:5] offset:2584
	ds_read_b64 v[4:5], v88 offset:816
	ds_read_b64 v[6:7], v8 offset:2448
	v_mov_b32_e32 v10, v1
	v_mov_b32_e32 v11, v19
	s_waitcnt lgkmcnt(0)
	v_pk_add_f32 v[20:21], v[4:5], v[6:7]
	v_pk_add_f32 v[4:5], v[4:5], v[6:7] neg_lo:[0,1] neg_hi:[0,1]
	v_mov_b32_e32 v6, v21
	v_mov_b32_e32 v7, v4
	v_pk_mul_f32 v[6:7], v[6:7], 0.5 op_sel_hi:[1,0]
	s_nop 0
	v_mov_b32_e32 v4, v7
	v_mov_b32_e32 v21, v6
	v_pk_mul_f32 v[4:5], v[0:1], v[4:5]
	s_waitcnt vmcnt(2)
	v_mov_b32_e32 v0, v17
	v_pk_fma_f32 v[22:23], v[20:21], v[10:11], v[4:5]
	v_pk_fma_f32 v[4:5], v[20:21], v[10:11], v[4:5] neg_lo:[0,0,1] neg_hi:[0,0,1]
	v_pk_fma_f32 v[10:11], v[18:19], v[6:7], v[22:23]
	v_pk_fma_f32 v[20:21], v[18:19], v[6:7], v[22:23] op_sel_hi:[0,1,1] neg_lo:[1,0,0] neg_hi:[1,0,0]
	v_mov_b32_e32 v11, v21
	v_pk_fma_f32 v[4:5], v[18:19], v[6:7], v[4:5] op_sel_hi:[0,1,1] neg_lo:[1,0,0] neg_hi:[1,0,0]
	ds_write_b64 v88, v[10:11] offset:816
	ds_write_b64 v8, v[4:5] offset:2448
	ds_read_b64 v[4:5], v88 offset:952
	ds_read_b64 v[6:7], v8 offset:2312
	global_load_dwordx2 v[18:19], v[2:3], off offset:1360
	v_mov_b32_e32 v10, v1
	v_mov_b32_e32 v11, v17
	s_waitcnt lgkmcnt(0)
	v_pk_add_f32 v[20:21], v[4:5], v[6:7]
	v_pk_add_f32 v[4:5], v[4:5], v[6:7] neg_lo:[0,1] neg_hi:[0,1]
	v_mov_b32_e32 v6, v21
	v_mov_b32_e32 v7, v4
	v_pk_mul_f32 v[6:7], v[6:7], 0.5 op_sel_hi:[1,0]
	s_nop 0
	v_mov_b32_e32 v4, v7
	v_mov_b32_e32 v21, v6
	v_pk_mul_f32 v[4:5], v[0:1], v[4:5]
	s_waitcnt vmcnt(2)
	v_mov_b32_e32 v0, v13
	v_pk_fma_f32 v[22:23], v[20:21], v[10:11], v[4:5]
	v_pk_fma_f32 v[4:5], v[20:21], v[10:11], v[4:5] neg_lo:[0,0,1] neg_hi:[0,0,1]
	v_pk_fma_f32 v[10:11], v[16:17], v[6:7], v[22:23]
	v_pk_fma_f32 v[20:21], v[16:17], v[6:7], v[22:23] op_sel_hi:[0,1,1] neg_lo:[1,0,0] neg_hi:[1,0,0]
	v_mov_b32_e32 v11, v21
	v_pk_fma_f32 v[4:5], v[16:17], v[6:7], v[4:5] op_sel_hi:[0,1,1] neg_lo:[1,0,0] neg_hi:[1,0,0]
	ds_write_b64 v88, v[10:11] offset:952
	ds_write_b64 v8, v[4:5] offset:2312
	ds_read_b64 v[4:5], v88 offset:1088
	ds_read_b64 v[6:7], v8 offset:2176
	global_load_dwordx2 v[2:3], v[2:3], off offset:1496
	v_mov_b32_e32 v10, v1
	v_mov_b32_e32 v11, v13
	s_waitcnt lgkmcnt(0)
	v_pk_add_f32 v[16:17], v[4:5], v[6:7]
	v_pk_add_f32 v[4:5], v[4:5], v[6:7] neg_lo:[0,1] neg_hi:[0,1]
	v_mov_b32_e32 v6, v17
	v_mov_b32_e32 v7, v4
	v_pk_mul_f32 v[6:7], v[6:7], 0.5 op_sel_hi:[1,0]
	s_nop 0
	v_mov_b32_e32 v4, v7
	v_mov_b32_e32 v17, v6
	v_pk_mul_f32 v[4:5], v[0:1], v[4:5]
	v_xor_b32_e32 v0, 0xff, v154
	v_pk_fma_f32 v[20:21], v[16:17], v[10:11], v[4:5]
	v_pk_fma_f32 v[4:5], v[16:17], v[10:11], v[4:5] neg_lo:[0,0,1] neg_hi:[0,0,1]
	v_pk_fma_f32 v[10:11], v[12:13], v[6:7], v[20:21]
	v_pk_fma_f32 v[16:17], v[12:13], v[6:7], v[20:21] op_sel_hi:[0,1,1] neg_lo:[1,0,0] neg_hi:[1,0,0]
	v_mov_b32_e32 v11, v17
	v_pk_fma_f32 v[4:5], v[12:13], v[6:7], v[4:5] op_sel_hi:[0,1,1] neg_lo:[1,0,0] neg_hi:[1,0,0]
	ds_write_b64 v88, v[10:11] offset:1088
	ds_write_b64 v8, v[4:5] offset:2176
	v_lshl_add_u32 v0, v0, 3, v26
	ds_read_b64 v[4:5], v88 offset:1224
	ds_read_b64 v[6:7], v0
	s_waitcnt lgkmcnt(0)
	v_pk_add_f32 v[10:11], v[4:5], v[6:7] neg_lo:[0,1] neg_hi:[0,1]
	v_pk_add_f32 v[4:5], v[4:5], v[6:7]
	v_mov_b32_e32 v6, v10
	v_mov_b32_e32 v7, v5
	v_pk_mul_f32 v[6:7], v[6:7], 0.5 op_sel_hi:[1,0]
	v_mov_b32_e32 v5, v11
	s_waitcnt vmcnt(2)
	v_pk_mul_f32 v[12:13], v[14:15], v[6:7] op_sel:[1,0]
	v_pk_mul_f32 v[10:11], v[4:5], 0.5 op_sel_hi:[1,0]
	v_pk_fma_f32 v[4:5], v[4:5], 0.5, v[12:13] op_sel_hi:[1,0,1]
	v_pk_mul_f32 v[6:7], v[14:15], v[6:7] op_sel_hi:[0,1]
	v_pk_add_f32 v[14:15], v[4:5], v[6:7] op_sel:[0,1] op_sel_hi:[1,0]
	v_pk_add_f32 v[4:5], v[4:5], v[6:7] op_sel:[0,1] op_sel_hi:[1,0] neg_lo:[0,1] neg_hi:[0,1]
	s_nop 0
	v_mov_b32_e32 v15, v5
	v_mov_b32_e32 v4, v10
	;; [unrolled: 1-line block ×4, first 2 shown]
	v_pk_add_f32 v[4:5], v[4:5], v[12:13] neg_lo:[0,1] neg_hi:[0,1]
	ds_write_b64 v88, v[14:15] offset:1224
	v_pk_add_f32 v[4:5], v[4:5], v[6:7] op_sel:[0,1] op_sel_hi:[1,0] neg_lo:[0,1] neg_hi:[0,1]
	ds_write_b64 v0, v[4:5]
	ds_read_b64 v[4:5], v88 offset:1360
	ds_read_b64 v[6:7], v8 offset:1904
	v_mov_b32_e32 v12, v1
	s_waitcnt lgkmcnt(0)
	v_pk_add_f32 v[10:11], v[4:5], v[6:7]
	v_pk_add_f32 v[4:5], v[4:5], v[6:7] neg_lo:[0,1] neg_hi:[0,1]
	v_mov_b32_e32 v6, v11
	v_mov_b32_e32 v7, v4
	v_pk_mul_f32 v[6:7], v[6:7], 0.5 op_sel_hi:[1,0]
	s_waitcnt vmcnt(1)
	v_mov_b32_e32 v0, v19
	v_mov_b32_e32 v4, v7
	v_pk_mul_f32 v[4:5], v[0:1], v[4:5]
	v_mov_b32_e32 v11, v6
	v_mov_b32_e32 v13, v19
	v_pk_fma_f32 v[14:15], v[10:11], v[12:13], v[4:5]
	v_pk_fma_f32 v[4:5], v[10:11], v[12:13], v[4:5] neg_lo:[0,0,1] neg_hi:[0,0,1]
	v_pk_fma_f32 v[16:17], v[18:19], v[6:7], v[14:15]
	v_pk_fma_f32 v[14:15], v[18:19], v[6:7], v[14:15] op_sel_hi:[0,1,1] neg_lo:[1,0,0] neg_hi:[1,0,0]
	v_mov_b32_e32 v17, v15
	v_pk_fma_f32 v[4:5], v[18:19], v[6:7], v[4:5] op_sel_hi:[0,1,1] neg_lo:[1,0,0] neg_hi:[1,0,0]
	ds_write_b64 v88, v[16:17] offset:1360
	ds_write_b64 v8, v[4:5] offset:1904
	ds_read_b64 v[4:5], v88 offset:1496
	ds_read_b64 v[6:7], v8 offset:1768
	s_waitcnt lgkmcnt(0)
	v_pk_add_f32 v[10:11], v[4:5], v[6:7]
	v_pk_add_f32 v[4:5], v[4:5], v[6:7] neg_lo:[0,1] neg_hi:[0,1]
	v_mov_b32_e32 v6, v11
	v_mov_b32_e32 v7, v4
	v_pk_mul_f32 v[6:7], v[6:7], 0.5 op_sel_hi:[1,0]
	s_waitcnt vmcnt(0)
	v_mov_b32_e32 v0, v3
	v_mov_b32_e32 v4, v7
	v_pk_mul_f32 v[4:5], v[0:1], v[4:5]
	v_mov_b32_e32 v11, v6
	v_mov_b32_e32 v0, v1
	v_mov_b32_e32 v1, v3
	v_pk_fma_f32 v[12:13], v[10:11], v[0:1], v[4:5]
	v_pk_fma_f32 v[0:1], v[10:11], v[0:1], v[4:5] neg_lo:[0,0,1] neg_hi:[0,0,1]
	v_pk_fma_f32 v[14:15], v[2:3], v[6:7], v[12:13]
	v_pk_fma_f32 v[12:13], v[2:3], v[6:7], v[12:13] op_sel_hi:[0,1,1] neg_lo:[1,0,0] neg_hi:[1,0,0]
	v_mov_b32_e32 v15, v13
	v_pk_fma_f32 v[0:1], v[2:3], v[6:7], v[0:1] op_sel_hi:[0,1,1] neg_lo:[1,0,0] neg_hi:[1,0,0]
	ds_write_b64 v88, v[14:15] offset:1496
	ds_write_b64 v8, v[0:1] offset:1768
	s_waitcnt lgkmcnt(0)
	; wave barrier
	s_waitcnt lgkmcnt(0)
	s_and_saveexec_b64 s[0:1], vcc
	s_cbranch_execz .LBB0_21
; %bb.19:
	v_mul_lo_u32 v2, s3, v68
	v_mul_lo_u32 v3, s2, v69
	v_mad_u64_u32 v[0:1], s[0:1], s2, v68, 0
	v_add3_u32 v1, v1, v3, v2
	v_lshl_add_u32 v2, v154, 3, v26
	ds_read2_b64 v[4:7], v2 offset1:17
	v_lshl_add_u64 v[0:1], v[0:1], 3, s[6:7]
	v_mov_b32_e32 v155, v203
	v_lshl_add_u64 v[0:1], v[64:65], 3, v[0:1]
	v_lshl_add_u64 v[8:9], v[154:155], 3, v[0:1]
	s_waitcnt lgkmcnt(0)
	global_store_dwordx2 v[8:9], v[4:5], off
	ds_read2_b64 v[8:11], v2 offset0:34 offset1:51
	v_add_u32_e32 v202, 17, v154
	v_lshl_add_u64 v[4:5], v[202:203], 3, v[0:1]
	v_add_u32_e32 v202, 34, v154
	global_store_dwordx2 v[4:5], v[6:7], off
	v_lshl_add_u64 v[4:5], v[202:203], 3, v[0:1]
	s_waitcnt lgkmcnt(0)
	global_store_dwordx2 v[4:5], v[8:9], off
	ds_read2_b64 v[4:7], v2 offset0:68 offset1:85
	v_add_u32_e32 v202, 51, v154
	v_lshl_add_u64 v[8:9], v[202:203], 3, v[0:1]
	v_add_u32_e32 v202, 0x44, v154
	global_store_dwordx2 v[8:9], v[10:11], off
	;; [unrolled: 8-line block ×7, first 2 shown]
	v_lshl_add_u64 v[4:5], v[202:203], 3, v[0:1]
	v_add_u32_e32 v3, 0x800, v2
	s_waitcnt lgkmcnt(0)
	global_store_dwordx2 v[4:5], v[8:9], off
	ds_read2_b64 v[4:7], v3 offset0:16 offset1:33
	v_add_u32_e32 v202, 0xff, v154
	v_lshl_add_u64 v[8:9], v[202:203], 3, v[0:1]
	v_add_u32_e32 v202, 0x110, v154
	global_store_dwordx2 v[8:9], v[10:11], off
	v_lshl_add_u64 v[8:9], v[202:203], 3, v[0:1]
	s_waitcnt lgkmcnt(0)
	global_store_dwordx2 v[8:9], v[4:5], off
	ds_read2_b64 v[8:11], v3 offset0:50 offset1:67
	v_add_u32_e32 v202, 0x121, v154
	v_lshl_add_u64 v[4:5], v[202:203], 3, v[0:1]
	v_add_u32_e32 v202, 0x132, v154
	global_store_dwordx2 v[4:5], v[6:7], off
	v_lshl_add_u64 v[4:5], v[202:203], 3, v[0:1]
	;; [unrolled: 8-line block ×4, first 2 shown]
	v_add_u32_e32 v202, 0x187, v154
	s_waitcnt lgkmcnt(0)
	global_store_dwordx2 v[4:5], v[8:9], off
	v_lshl_add_u64 v[4:5], v[202:203], 3, v[0:1]
	v_cmp_eq_u32_e32 vcc, 16, v154
	global_store_dwordx2 v[4:5], v[10:11], off
	s_and_b64 exec, exec, vcc
	s_cbranch_execz .LBB0_21
; %bb.20:
	ds_read_b64 v[2:3], v2 offset:3136
	s_waitcnt lgkmcnt(0)
	global_store_dwordx2 v[0:1], v[2:3], off offset:3264
.LBB0_21:
	s_endpgm
	.section	.rodata,"a",@progbits
	.p2align	6, 0x0
	.amdhsa_kernel fft_rtc_fwd_len408_factors_17_3_8_wgs_51_tpt_17_halfLds_sp_op_CI_CI_unitstride_sbrr_R2C_dirReg
		.amdhsa_group_segment_fixed_size 0
		.amdhsa_private_segment_fixed_size 0
		.amdhsa_kernarg_size 104
		.amdhsa_user_sgpr_count 2
		.amdhsa_user_sgpr_dispatch_ptr 0
		.amdhsa_user_sgpr_queue_ptr 0
		.amdhsa_user_sgpr_kernarg_segment_ptr 1
		.amdhsa_user_sgpr_dispatch_id 0
		.amdhsa_user_sgpr_kernarg_preload_length 0
		.amdhsa_user_sgpr_kernarg_preload_offset 0
		.amdhsa_user_sgpr_private_segment_size 0
		.amdhsa_uses_dynamic_stack 0
		.amdhsa_enable_private_segment 0
		.amdhsa_system_sgpr_workgroup_id_x 1
		.amdhsa_system_sgpr_workgroup_id_y 0
		.amdhsa_system_sgpr_workgroup_id_z 0
		.amdhsa_system_sgpr_workgroup_info 0
		.amdhsa_system_vgpr_workitem_id 0
		.amdhsa_next_free_vgpr 326
		.amdhsa_next_free_sgpr 76
		.amdhsa_accum_offset 256
		.amdhsa_reserve_vcc 1
		.amdhsa_float_round_mode_32 0
		.amdhsa_float_round_mode_16_64 0
		.amdhsa_float_denorm_mode_32 3
		.amdhsa_float_denorm_mode_16_64 3
		.amdhsa_dx10_clamp 1
		.amdhsa_ieee_mode 1
		.amdhsa_fp16_overflow 0
		.amdhsa_tg_split 0
		.amdhsa_exception_fp_ieee_invalid_op 0
		.amdhsa_exception_fp_denorm_src 0
		.amdhsa_exception_fp_ieee_div_zero 0
		.amdhsa_exception_fp_ieee_overflow 0
		.amdhsa_exception_fp_ieee_underflow 0
		.amdhsa_exception_fp_ieee_inexact 0
		.amdhsa_exception_int_div_zero 0
	.end_amdhsa_kernel
	.text
.Lfunc_end0:
	.size	fft_rtc_fwd_len408_factors_17_3_8_wgs_51_tpt_17_halfLds_sp_op_CI_CI_unitstride_sbrr_R2C_dirReg, .Lfunc_end0-fft_rtc_fwd_len408_factors_17_3_8_wgs_51_tpt_17_halfLds_sp_op_CI_CI_unitstride_sbrr_R2C_dirReg
                                        ; -- End function
	.section	.AMDGPU.csdata,"",@progbits
; Kernel info:
; codeLenInByte = 18904
; NumSgprs: 82
; NumVgprs: 256
; NumAgprs: 70
; TotalNumVgprs: 326
; ScratchSize: 0
; MemoryBound: 0
; FloatMode: 240
; IeeeMode: 1
; LDSByteSize: 0 bytes/workgroup (compile time only)
; SGPRBlocks: 10
; VGPRBlocks: 40
; NumSGPRsForWavesPerEU: 82
; NumVGPRsForWavesPerEU: 326
; AccumOffset: 256
; Occupancy: 1
; WaveLimiterHint : 1
; COMPUTE_PGM_RSRC2:SCRATCH_EN: 0
; COMPUTE_PGM_RSRC2:USER_SGPR: 2
; COMPUTE_PGM_RSRC2:TRAP_HANDLER: 0
; COMPUTE_PGM_RSRC2:TGID_X_EN: 1
; COMPUTE_PGM_RSRC2:TGID_Y_EN: 0
; COMPUTE_PGM_RSRC2:TGID_Z_EN: 0
; COMPUTE_PGM_RSRC2:TIDIG_COMP_CNT: 0
; COMPUTE_PGM_RSRC3_GFX90A:ACCUM_OFFSET: 63
; COMPUTE_PGM_RSRC3_GFX90A:TG_SPLIT: 0
	.text
	.p2alignl 6, 3212836864
	.fill 256, 4, 3212836864
	.type	__hip_cuid_1dbc8d071af8977d,@object ; @__hip_cuid_1dbc8d071af8977d
	.section	.bss,"aw",@nobits
	.globl	__hip_cuid_1dbc8d071af8977d
__hip_cuid_1dbc8d071af8977d:
	.byte	0                               ; 0x0
	.size	__hip_cuid_1dbc8d071af8977d, 1

	.ident	"AMD clang version 19.0.0git (https://github.com/RadeonOpenCompute/llvm-project roc-6.4.0 25133 c7fe45cf4b819c5991fe208aaa96edf142730f1d)"
	.section	".note.GNU-stack","",@progbits
	.addrsig
	.addrsig_sym __hip_cuid_1dbc8d071af8977d
	.amdgpu_metadata
---
amdhsa.kernels:
  - .agpr_count:     70
    .args:
      - .actual_access:  read_only
        .address_space:  global
        .offset:         0
        .size:           8
        .value_kind:     global_buffer
      - .offset:         8
        .size:           8
        .value_kind:     by_value
      - .actual_access:  read_only
        .address_space:  global
        .offset:         16
        .size:           8
        .value_kind:     global_buffer
      - .actual_access:  read_only
        .address_space:  global
        .offset:         24
        .size:           8
        .value_kind:     global_buffer
      - .actual_access:  read_only
        .address_space:  global
        .offset:         32
        .size:           8
        .value_kind:     global_buffer
      - .offset:         40
        .size:           8
        .value_kind:     by_value
      - .actual_access:  read_only
        .address_space:  global
        .offset:         48
        .size:           8
        .value_kind:     global_buffer
      - .actual_access:  read_only
        .address_space:  global
        .offset:         56
        .size:           8
        .value_kind:     global_buffer
      - .offset:         64
        .size:           4
        .value_kind:     by_value
      - .actual_access:  read_only
        .address_space:  global
        .offset:         72
        .size:           8
        .value_kind:     global_buffer
      - .actual_access:  read_only
        .address_space:  global
        .offset:         80
        .size:           8
        .value_kind:     global_buffer
      - .actual_access:  read_only
        .address_space:  global
        .offset:         88
        .size:           8
        .value_kind:     global_buffer
      - .actual_access:  write_only
        .address_space:  global
        .offset:         96
        .size:           8
        .value_kind:     global_buffer
    .group_segment_fixed_size: 0
    .kernarg_segment_align: 8
    .kernarg_segment_size: 104
    .language:       OpenCL C
    .language_version:
      - 2
      - 0
    .max_flat_workgroup_size: 51
    .name:           fft_rtc_fwd_len408_factors_17_3_8_wgs_51_tpt_17_halfLds_sp_op_CI_CI_unitstride_sbrr_R2C_dirReg
    .private_segment_fixed_size: 0
    .sgpr_count:     82
    .sgpr_spill_count: 0
    .symbol:         fft_rtc_fwd_len408_factors_17_3_8_wgs_51_tpt_17_halfLds_sp_op_CI_CI_unitstride_sbrr_R2C_dirReg.kd
    .uniform_work_group_size: 1
    .uses_dynamic_stack: false
    .vgpr_count:     326
    .vgpr_spill_count: 0
    .wavefront_size: 64
amdhsa.target:   amdgcn-amd-amdhsa--gfx950
amdhsa.version:
  - 1
  - 2
...

	.end_amdgpu_metadata
